;; amdgpu-corpus repo=ROCm/rocFFT kind=compiled arch=gfx1201 opt=O3
	.text
	.amdgcn_target "amdgcn-amd-amdhsa--gfx1201"
	.amdhsa_code_object_version 6
	.protected	fft_rtc_back_len3600_factors_10_10_6_6_wgs_120_tpt_120_halfLds_half_op_CI_CI_sbrr_dirReg ; -- Begin function fft_rtc_back_len3600_factors_10_10_6_6_wgs_120_tpt_120_halfLds_half_op_CI_CI_sbrr_dirReg
	.globl	fft_rtc_back_len3600_factors_10_10_6_6_wgs_120_tpt_120_halfLds_half_op_CI_CI_sbrr_dirReg
	.p2align	8
	.type	fft_rtc_back_len3600_factors_10_10_6_6_wgs_120_tpt_120_halfLds_half_op_CI_CI_sbrr_dirReg,@function
fft_rtc_back_len3600_factors_10_10_6_6_wgs_120_tpt_120_halfLds_half_op_CI_CI_sbrr_dirReg: ; @fft_rtc_back_len3600_factors_10_10_6_6_wgs_120_tpt_120_halfLds_half_op_CI_CI_sbrr_dirReg
; %bb.0:
	s_clause 0x2
	s_load_b128 s[12:15], s[0:1], 0x18
	s_load_b128 s[8:11], s[0:1], 0x0
	;; [unrolled: 1-line block ×3, first 2 shown]
	v_mul_u32_u24_e32 v1, 0x223, v0
	v_mov_b32_e32 v3, 0
	s_wait_kmcnt 0x0
	s_load_b64 s[18:19], s[12:13], 0x0
	s_load_b64 s[16:17], s[14:15], 0x0
	v_lshrrev_b32_e32 v1, 16, v1
	v_cmp_lt_u64_e64 s2, s[10:11], 2
	s_delay_alu instid0(VALU_DEP_2)
	v_add_nc_u32_e32 v5, ttmp9, v1
	v_mov_b32_e32 v1, 0
	v_mov_b32_e32 v2, 0
	;; [unrolled: 1-line block ×3, first 2 shown]
	s_and_b32 vcc_lo, exec_lo, s2
	s_cbranch_vccnz .LBB0_8
; %bb.1:
	s_load_b64 s[2:3], s[0:1], 0x10
	v_mov_b32_e32 v1, 0
	v_mov_b32_e32 v2, 0
	s_add_nc_u64 s[20:21], s[14:15], 8
	s_add_nc_u64 s[22:23], s[12:13], 8
	s_mov_b64 s[24:25], 1
	s_delay_alu instid0(VALU_DEP_1)
	v_dual_mov_b32 v21, v2 :: v_dual_mov_b32 v20, v1
	s_wait_kmcnt 0x0
	s_add_nc_u64 s[26:27], s[2:3], 8
	s_mov_b32 s3, 0
.LBB0_2:                                ; =>This Inner Loop Header: Depth=1
	s_load_b64 s[28:29], s[26:27], 0x0
                                        ; implicit-def: $vgpr22_vgpr23
	s_mov_b32 s2, exec_lo
	s_wait_kmcnt 0x0
	v_or_b32_e32 v4, s29, v6
	s_delay_alu instid0(VALU_DEP_1)
	v_cmpx_ne_u64_e32 0, v[3:4]
	s_wait_alu 0xfffe
	s_xor_b32 s30, exec_lo, s2
	s_cbranch_execz .LBB0_4
; %bb.3:                                ;   in Loop: Header=BB0_2 Depth=1
	s_cvt_f32_u32 s2, s28
	s_cvt_f32_u32 s31, s29
	s_sub_nc_u64 s[36:37], 0, s[28:29]
	s_wait_alu 0xfffe
	s_delay_alu instid0(SALU_CYCLE_1) | instskip(SKIP_1) | instid1(SALU_CYCLE_2)
	s_fmamk_f32 s2, s31, 0x4f800000, s2
	s_wait_alu 0xfffe
	v_s_rcp_f32 s2, s2
	s_delay_alu instid0(TRANS32_DEP_1) | instskip(SKIP_1) | instid1(SALU_CYCLE_2)
	s_mul_f32 s2, s2, 0x5f7ffffc
	s_wait_alu 0xfffe
	s_mul_f32 s31, s2, 0x2f800000
	s_wait_alu 0xfffe
	s_delay_alu instid0(SALU_CYCLE_2) | instskip(SKIP_1) | instid1(SALU_CYCLE_2)
	s_trunc_f32 s31, s31
	s_wait_alu 0xfffe
	s_fmamk_f32 s2, s31, 0xcf800000, s2
	s_cvt_u32_f32 s35, s31
	s_wait_alu 0xfffe
	s_delay_alu instid0(SALU_CYCLE_1) | instskip(SKIP_1) | instid1(SALU_CYCLE_2)
	s_cvt_u32_f32 s34, s2
	s_wait_alu 0xfffe
	s_mul_u64 s[38:39], s[36:37], s[34:35]
	s_wait_alu 0xfffe
	s_mul_hi_u32 s41, s34, s39
	s_mul_i32 s40, s34, s39
	s_mul_hi_u32 s2, s34, s38
	s_mul_i32 s33, s35, s38
	s_wait_alu 0xfffe
	s_add_nc_u64 s[40:41], s[2:3], s[40:41]
	s_mul_hi_u32 s31, s35, s38
	s_mul_hi_u32 s42, s35, s39
	s_add_co_u32 s2, s40, s33
	s_wait_alu 0xfffe
	s_add_co_ci_u32 s2, s41, s31
	s_mul_i32 s38, s35, s39
	s_add_co_ci_u32 s39, s42, 0
	s_wait_alu 0xfffe
	s_add_nc_u64 s[38:39], s[2:3], s[38:39]
	s_wait_alu 0xfffe
	v_add_co_u32 v4, s2, s34, s38
	s_delay_alu instid0(VALU_DEP_1) | instskip(SKIP_1) | instid1(VALU_DEP_1)
	s_cmp_lg_u32 s2, 0
	s_add_co_ci_u32 s35, s35, s39
	v_readfirstlane_b32 s34, v4
	s_wait_alu 0xfffe
	s_delay_alu instid0(VALU_DEP_1)
	s_mul_u64 s[36:37], s[36:37], s[34:35]
	s_wait_alu 0xfffe
	s_mul_hi_u32 s39, s34, s37
	s_mul_i32 s38, s34, s37
	s_mul_hi_u32 s2, s34, s36
	s_mul_i32 s33, s35, s36
	s_wait_alu 0xfffe
	s_add_nc_u64 s[38:39], s[2:3], s[38:39]
	s_mul_hi_u32 s31, s35, s36
	s_mul_hi_u32 s34, s35, s37
	s_wait_alu 0xfffe
	s_add_co_u32 s2, s38, s33
	s_add_co_ci_u32 s2, s39, s31
	s_mul_i32 s36, s35, s37
	s_add_co_ci_u32 s37, s34, 0
	s_wait_alu 0xfffe
	s_add_nc_u64 s[36:37], s[2:3], s[36:37]
	s_wait_alu 0xfffe
	v_add_co_u32 v4, s2, v4, s36
	s_delay_alu instid0(VALU_DEP_1) | instskip(SKIP_1) | instid1(VALU_DEP_1)
	s_cmp_lg_u32 s2, 0
	s_add_co_ci_u32 s2, s35, s37
	v_mul_hi_u32 v13, v5, v4
	s_wait_alu 0xfffe
	v_mad_co_u64_u32 v[7:8], null, v5, s2, 0
	v_mad_co_u64_u32 v[9:10], null, v6, v4, 0
	;; [unrolled: 1-line block ×3, first 2 shown]
	s_delay_alu instid0(VALU_DEP_3) | instskip(SKIP_1) | instid1(VALU_DEP_4)
	v_add_co_u32 v4, vcc_lo, v13, v7
	s_wait_alu 0xfffd
	v_add_co_ci_u32_e32 v7, vcc_lo, 0, v8, vcc_lo
	s_delay_alu instid0(VALU_DEP_2) | instskip(SKIP_1) | instid1(VALU_DEP_2)
	v_add_co_u32 v4, vcc_lo, v4, v9
	s_wait_alu 0xfffd
	v_add_co_ci_u32_e32 v4, vcc_lo, v7, v10, vcc_lo
	s_wait_alu 0xfffd
	v_add_co_ci_u32_e32 v7, vcc_lo, 0, v12, vcc_lo
	s_delay_alu instid0(VALU_DEP_2) | instskip(SKIP_1) | instid1(VALU_DEP_2)
	v_add_co_u32 v4, vcc_lo, v4, v11
	s_wait_alu 0xfffd
	v_add_co_ci_u32_e32 v9, vcc_lo, 0, v7, vcc_lo
	s_delay_alu instid0(VALU_DEP_2) | instskip(SKIP_1) | instid1(VALU_DEP_3)
	v_mul_lo_u32 v10, s29, v4
	v_mad_co_u64_u32 v[7:8], null, s28, v4, 0
	v_mul_lo_u32 v11, s28, v9
	s_delay_alu instid0(VALU_DEP_2) | instskip(NEXT) | instid1(VALU_DEP_2)
	v_sub_co_u32 v7, vcc_lo, v5, v7
	v_add3_u32 v8, v8, v11, v10
	s_delay_alu instid0(VALU_DEP_1) | instskip(SKIP_1) | instid1(VALU_DEP_1)
	v_sub_nc_u32_e32 v10, v6, v8
	s_wait_alu 0xfffd
	v_subrev_co_ci_u32_e64 v10, s2, s29, v10, vcc_lo
	v_add_co_u32 v11, s2, v4, 2
	s_wait_alu 0xf1ff
	v_add_co_ci_u32_e64 v12, s2, 0, v9, s2
	v_sub_co_u32 v13, s2, v7, s28
	v_sub_co_ci_u32_e32 v8, vcc_lo, v6, v8, vcc_lo
	s_wait_alu 0xf1ff
	v_subrev_co_ci_u32_e64 v10, s2, 0, v10, s2
	s_delay_alu instid0(VALU_DEP_3) | instskip(NEXT) | instid1(VALU_DEP_3)
	v_cmp_le_u32_e32 vcc_lo, s28, v13
	v_cmp_eq_u32_e64 s2, s29, v8
	s_wait_alu 0xfffd
	v_cndmask_b32_e64 v13, 0, -1, vcc_lo
	v_cmp_le_u32_e32 vcc_lo, s29, v10
	s_wait_alu 0xfffd
	v_cndmask_b32_e64 v14, 0, -1, vcc_lo
	v_cmp_le_u32_e32 vcc_lo, s28, v7
	;; [unrolled: 3-line block ×3, first 2 shown]
	s_wait_alu 0xfffd
	v_cndmask_b32_e64 v15, 0, -1, vcc_lo
	v_cmp_eq_u32_e32 vcc_lo, s29, v10
	s_wait_alu 0xf1ff
	s_delay_alu instid0(VALU_DEP_2)
	v_cndmask_b32_e64 v7, v15, v7, s2
	s_wait_alu 0xfffd
	v_cndmask_b32_e32 v10, v14, v13, vcc_lo
	v_add_co_u32 v13, vcc_lo, v4, 1
	s_wait_alu 0xfffd
	v_add_co_ci_u32_e32 v14, vcc_lo, 0, v9, vcc_lo
	s_delay_alu instid0(VALU_DEP_3) | instskip(SKIP_1) | instid1(VALU_DEP_2)
	v_cmp_ne_u32_e32 vcc_lo, 0, v10
	s_wait_alu 0xfffd
	v_cndmask_b32_e32 v8, v14, v12, vcc_lo
	v_cndmask_b32_e32 v10, v13, v11, vcc_lo
	v_cmp_ne_u32_e32 vcc_lo, 0, v7
	s_wait_alu 0xfffd
	s_delay_alu instid0(VALU_DEP_2)
	v_dual_cndmask_b32 v23, v9, v8 :: v_dual_cndmask_b32 v22, v4, v10
.LBB0_4:                                ;   in Loop: Header=BB0_2 Depth=1
	s_wait_alu 0xfffe
	s_and_not1_saveexec_b32 s2, s30
	s_cbranch_execz .LBB0_6
; %bb.5:                                ;   in Loop: Header=BB0_2 Depth=1
	v_cvt_f32_u32_e32 v4, s28
	s_sub_co_i32 s30, 0, s28
	v_mov_b32_e32 v23, v3
	s_delay_alu instid0(VALU_DEP_2) | instskip(NEXT) | instid1(TRANS32_DEP_1)
	v_rcp_iflag_f32_e32 v4, v4
	v_mul_f32_e32 v4, 0x4f7ffffe, v4
	s_delay_alu instid0(VALU_DEP_1) | instskip(SKIP_1) | instid1(VALU_DEP_1)
	v_cvt_u32_f32_e32 v4, v4
	s_wait_alu 0xfffe
	v_mul_lo_u32 v7, s30, v4
	s_delay_alu instid0(VALU_DEP_1) | instskip(NEXT) | instid1(VALU_DEP_1)
	v_mul_hi_u32 v7, v4, v7
	v_add_nc_u32_e32 v4, v4, v7
	s_delay_alu instid0(VALU_DEP_1) | instskip(NEXT) | instid1(VALU_DEP_1)
	v_mul_hi_u32 v4, v5, v4
	v_mul_lo_u32 v7, v4, s28
	v_add_nc_u32_e32 v8, 1, v4
	s_delay_alu instid0(VALU_DEP_2) | instskip(NEXT) | instid1(VALU_DEP_1)
	v_sub_nc_u32_e32 v7, v5, v7
	v_subrev_nc_u32_e32 v9, s28, v7
	v_cmp_le_u32_e32 vcc_lo, s28, v7
	s_wait_alu 0xfffd
	s_delay_alu instid0(VALU_DEP_2) | instskip(NEXT) | instid1(VALU_DEP_1)
	v_dual_cndmask_b32 v7, v7, v9 :: v_dual_cndmask_b32 v4, v4, v8
	v_cmp_le_u32_e32 vcc_lo, s28, v7
	s_delay_alu instid0(VALU_DEP_2) | instskip(SKIP_1) | instid1(VALU_DEP_1)
	v_add_nc_u32_e32 v8, 1, v4
	s_wait_alu 0xfffd
	v_cndmask_b32_e32 v22, v4, v8, vcc_lo
.LBB0_6:                                ;   in Loop: Header=BB0_2 Depth=1
	s_wait_alu 0xfffe
	s_or_b32 exec_lo, exec_lo, s2
	v_mul_lo_u32 v4, v23, s28
	s_delay_alu instid0(VALU_DEP_2)
	v_mul_lo_u32 v9, v22, s29
	s_load_b64 s[30:31], s[22:23], 0x0
	v_mad_co_u64_u32 v[7:8], null, v22, s28, 0
	s_load_b64 s[28:29], s[20:21], 0x0
	s_add_nc_u64 s[24:25], s[24:25], 1
	s_add_nc_u64 s[20:21], s[20:21], 8
	s_wait_alu 0xfffe
	v_cmp_ge_u64_e64 s2, s[24:25], s[10:11]
	s_add_nc_u64 s[22:23], s[22:23], 8
	s_add_nc_u64 s[26:27], s[26:27], 8
	v_add3_u32 v4, v8, v9, v4
	v_sub_co_u32 v5, vcc_lo, v5, v7
	s_wait_alu 0xfffd
	s_delay_alu instid0(VALU_DEP_2) | instskip(SKIP_2) | instid1(VALU_DEP_1)
	v_sub_co_ci_u32_e32 v4, vcc_lo, v6, v4, vcc_lo
	s_and_b32 vcc_lo, exec_lo, s2
	s_wait_kmcnt 0x0
	v_mul_lo_u32 v6, s30, v4
	v_mul_lo_u32 v7, s31, v5
	v_mad_co_u64_u32 v[1:2], null, s30, v5, v[1:2]
	v_mul_lo_u32 v4, s28, v4
	v_mul_lo_u32 v8, s29, v5
	v_mad_co_u64_u32 v[20:21], null, s28, v5, v[20:21]
	s_delay_alu instid0(VALU_DEP_4) | instskip(NEXT) | instid1(VALU_DEP_2)
	v_add3_u32 v2, v7, v2, v6
	v_add3_u32 v21, v8, v21, v4
	s_wait_alu 0xfffe
	s_cbranch_vccnz .LBB0_9
; %bb.7:                                ;   in Loop: Header=BB0_2 Depth=1
	v_dual_mov_b32 v5, v22 :: v_dual_mov_b32 v6, v23
	s_branch .LBB0_2
.LBB0_8:
	s_delay_alu instid0(VALU_DEP_2) | instskip(NEXT) | instid1(VALU_DEP_2)
	v_dual_mov_b32 v21, v2 :: v_dual_mov_b32 v20, v1
	v_dual_mov_b32 v23, v6 :: v_dual_mov_b32 v22, v5
.LBB0_9:
	s_load_b64 s[0:1], s[0:1], 0x28
	v_mul_hi_u32 v72, 0x2222223, v0
	s_lshl_b64 s[10:11], s[10:11], 3
                                        ; implicit-def: $vgpr24
                                        ; implicit-def: $vgpr26
                                        ; implicit-def: $vgpr27
                                        ; implicit-def: $vgpr25
                                        ; implicit-def: $vgpr16
	s_wait_kmcnt 0x0
	v_cmp_gt_u64_e32 vcc_lo, s[0:1], v[22:23]
	v_cmp_le_u64_e64 s0, s[0:1], v[22:23]
	s_delay_alu instid0(VALU_DEP_1)
	s_and_saveexec_b32 s1, s0
	s_wait_alu 0xfffe
	s_xor_b32 s0, exec_lo, s1
; %bb.10:
	v_mul_u32_u24_e32 v1, 0x78, v72
                                        ; implicit-def: $vgpr72
	s_delay_alu instid0(VALU_DEP_1) | instskip(NEXT) | instid1(VALU_DEP_1)
	v_sub_nc_u32_e32 v24, v0, v1
                                        ; implicit-def: $vgpr0
                                        ; implicit-def: $vgpr1_vgpr2
	v_add_nc_u32_e32 v26, 0x78, v24
	v_add_nc_u32_e32 v27, 0xf0, v24
	;; [unrolled: 1-line block ×4, first 2 shown]
; %bb.11:
	s_wait_alu 0xfffe
	s_or_saveexec_b32 s1, s0
	s_add_nc_u64 s[2:3], s[14:15], s[10:11]
                                        ; implicit-def: $vgpr9
                                        ; implicit-def: $vgpr13
                                        ; implicit-def: $vgpr33
                                        ; implicit-def: $vgpr35
                                        ; implicit-def: $vgpr12
                                        ; implicit-def: $vgpr11
                                        ; implicit-def: $vgpr34
                                        ; implicit-def: $vgpr30
                                        ; implicit-def: $vgpr15
                                        ; implicit-def: $vgpr14
                                        ; implicit-def: $vgpr36
                                        ; implicit-def: $vgpr31
                                        ; implicit-def: $vgpr17
                                        ; implicit-def: $vgpr5
                                        ; implicit-def: $vgpr37
                                        ; implicit-def: $vgpr28
                                        ; implicit-def: $vgpr8
                                        ; implicit-def: $vgpr4
                                        ; implicit-def: $vgpr6
                                        ; implicit-def: $vgpr3
                                        ; implicit-def: $vgpr47
                                        ; implicit-def: $vgpr44
                                        ; implicit-def: $vgpr58
                                        ; implicit-def: $vgpr56
                                        ; implicit-def: $vgpr48
                                        ; implicit-def: $vgpr45
                                        ; implicit-def: $vgpr59
                                        ; implicit-def: $vgpr54
                                        ; implicit-def: $vgpr50
                                        ; implicit-def: $vgpr18
                                        ; implicit-def: $vgpr60
                                        ; implicit-def: $vgpr38
                                        ; implicit-def: $vgpr52
                                        ; implicit-def: $vgpr19
                                        ; implicit-def: $vgpr61
                                        ; implicit-def: $vgpr41
                                        ; implicit-def: $vgpr46
                                        ; implicit-def: $vgpr10
                                        ; implicit-def: $vgpr43
                                        ; implicit-def: $vgpr7
                                        ; implicit-def: $vgpr64
                                        ; implicit-def: $vgpr55
                                        ; implicit-def: $vgpr68
                                        ; implicit-def: $vgpr57
                                        ; implicit-def: $vgpr65
                                        ; implicit-def: $vgpr39
                                        ; implicit-def: $vgpr69
                                        ; implicit-def: $vgpr49
                                        ; implicit-def: $vgpr66
                                        ; implicit-def: $vgpr40
                                        ; implicit-def: $vgpr70
                                        ; implicit-def: $vgpr51
                                        ; implicit-def: $vgpr67
                                        ; implicit-def: $vgpr42
                                        ; implicit-def: $vgpr71
                                        ; implicit-def: $vgpr53
                                        ; implicit-def: $vgpr63
                                        ; implicit-def: $vgpr32
                                        ; implicit-def: $vgpr62
                                        ; implicit-def: $vgpr29
	s_wait_alu 0xfffe
	s_xor_b32 exec_lo, exec_lo, s1
	s_cbranch_execz .LBB0_13
; %bb.12:
	s_add_nc_u64 s[10:11], s[12:13], s[10:11]
	v_mul_u32_u24_e32 v3, 0x78, v72
	s_load_b64 s[10:11], s[10:11], 0x0
	s_delay_alu instid0(VALU_DEP_1) | instskip(SKIP_1) | instid1(VALU_DEP_2)
	v_sub_nc_u32_e32 v24, v0, v3
	v_lshlrev_b64_e32 v[0:1], 2, v[1:2]
	v_mad_co_u64_u32 v[3:4], null, s18, v24, 0
	v_add_nc_u32_e32 v25, 0x168, v24
	v_add_nc_u32_e32 v18, 0x438, v24
	;; [unrolled: 1-line block ×5, first 2 shown]
	v_dual_mov_b32 v2, v4 :: v_dual_add_nc_u32 v29, 0xb40, v24
	v_mad_co_u64_u32 v[5:6], null, s18, v25, 0
	v_add_nc_u32_e32 v17, 0x2d0, v24
	s_wait_kmcnt 0x0
	v_mul_lo_u32 v4, s11, v22
	v_mul_lo_u32 v14, s10, v23
	v_mad_co_u64_u32 v[9:10], null, s10, v22, 0
	v_mad_co_u64_u32 v[11:12], null, s19, v24, v[2:3]
	v_mov_b32_e32 v2, v6
	v_mad_co_u64_u32 v[7:8], null, s18, v17, 0
	v_add_nc_u32_e32 v19, 0x5a0, v24
	v_add3_u32 v10, v10, v14, v4
	v_mad_co_u64_u32 v[12:13], null, s18, v18, 0
	v_mov_b32_e32 v4, v11
	v_mad_co_u64_u32 v[14:15], null, s19, v25, v[2:3]
	v_mov_b32_e32 v6, v8
	v_lshlrev_b64_e32 v[8:9], 2, v[9:10]
	s_delay_alu instid0(VALU_DEP_4)
	v_lshlrev_b64_e32 v[3:4], 2, v[3:4]
	v_mov_b32_e32 v2, v13
	v_mad_co_u64_u32 v[15:16], null, s18, v19, 0
	v_mad_co_u64_u32 v[10:11], null, s19, v17, v[6:7]
	v_add_co_u32 v11, s0, s4, v8
	s_wait_alu 0xf1ff
	v_add_co_ci_u32_e64 v9, s0, s5, v9, s0
	v_mov_b32_e32 v6, v14
	s_delay_alu instid0(VALU_DEP_3) | instskip(SKIP_1) | instid1(VALU_DEP_3)
	v_add_co_u32 v0, s0, v11, v0
	s_wait_alu 0xf1ff
	v_add_co_ci_u32_e64 v1, s0, v9, v1, s0
	v_mov_b32_e32 v8, v10
	s_delay_alu instid0(VALU_DEP_3) | instskip(SKIP_3) | instid1(VALU_DEP_3)
	v_add_co_u32 v3, s0, v0, v3
	v_lshlrev_b64_e32 v[5:6], 2, v[5:6]
	s_wait_alu 0xf1ff
	v_add_co_ci_u32_e64 v4, s0, v1, v4, s0
	v_mad_co_u64_u32 v[9:10], null, s19, v18, v[2:3]
	v_add_nc_u32_e32 v18, 0x708, v24
	v_mov_b32_e32 v2, v16
	v_lshlrev_b64_e32 v[7:8], 2, v[7:8]
	v_add_co_u32 v5, s0, v0, v5
	s_wait_alu 0xf1ff
	v_add_co_ci_u32_e64 v6, s0, v1, v6, s0
	v_mov_b32_e32 v13, v9
	v_mad_co_u64_u32 v[9:10], null, s18, v18, 0
	v_mad_co_u64_u32 v[16:17], null, s19, v19, v[2:3]
	s_delay_alu instid0(VALU_DEP_3)
	v_lshlrev_b64_e32 v[11:12], 2, v[12:13]
	v_mad_co_u64_u32 v[13:14], null, s18, v26, 0
	v_add_co_u32 v7, s0, v0, v7
	v_mov_b32_e32 v2, v10
	v_lshlrev_b64_e32 v[15:16], 2, v[15:16]
	s_wait_alu 0xf1ff
	v_add_co_ci_u32_e64 v8, s0, v1, v8, s0
	v_add_co_u32 v11, s0, v0, v11
	v_mad_co_u64_u32 v[17:18], null, s19, v18, v[2:3]
	v_mov_b32_e32 v2, v14
	v_mad_co_u64_u32 v[18:19], null, s18, v28, 0
	v_mad_co_u64_u32 v[30:31], null, s18, v32, 0
	s_delay_alu instid0(VALU_DEP_3)
	v_mad_co_u64_u32 v[26:27], null, s19, v26, v[2:3]
	v_mov_b32_e32 v10, v17
	s_wait_alu 0xf1ff
	v_add_co_ci_u32_e64 v12, s0, v1, v12, s0
	v_mov_b32_e32 v2, v19
	v_add_co_u32 v15, s0, v0, v15
	v_mov_b32_e32 v14, v26
	v_lshlrev_b64_e32 v[9:10], 2, v[9:10]
	s_delay_alu instid0(VALU_DEP_4) | instskip(SKIP_1) | instid1(VALU_DEP_4)
	v_mad_co_u64_u32 v[26:27], null, s19, v28, v[2:3]
	v_mad_co_u64_u32 v[27:28], null, s18, v29, 0
	v_lshlrev_b64_e32 v[13:14], 2, v[13:14]
	s_wait_alu 0xf1ff
	v_add_co_ci_u32_e64 v16, s0, v1, v16, s0
	v_add_co_u32 v9, s0, v0, v9
	s_delay_alu instid0(VALU_DEP_4) | instskip(SKIP_3) | instid1(VALU_DEP_3)
	v_dual_mov_b32 v19, v26 :: v_dual_mov_b32 v2, v28
	s_wait_alu 0xf1ff
	v_add_co_ci_u32_e64 v10, s0, v1, v10, s0
	v_add_co_u32 v13, s0, v0, v13
	v_lshlrev_b64_e32 v[17:18], 2, v[18:19]
	v_mad_co_u64_u32 v[28:29], null, s19, v29, v[2:3]
	v_mov_b32_e32 v2, v31
	v_add_nc_u32_e32 v26, 0x78, v24
	s_wait_alu 0xf1ff
	v_add_co_ci_u32_e64 v14, s0, v1, v14, s0
	v_add_co_u32 v17, s0, v0, v17
	v_mad_co_u64_u32 v[31:32], null, s19, v32, v[2:3]
	s_wait_alu 0xf1ff
	v_add_co_ci_u32_e64 v18, s0, v1, v18, s0
	v_mad_co_u64_u32 v[33:34], null, s18, v26, 0
	s_clause 0x7
	global_load_b32 v29, v[3:4], off
	global_load_b32 v32, v[5:6], off
	;; [unrolled: 1-line block ×8, first 2 shown]
	v_add_nc_u32_e32 v16, 0x1e0, v24
	v_add_nc_u32_e32 v17, 0x348, v24
	v_lshlrev_b64_e32 v[2:3], 2, v[27:28]
	v_add_nc_u32_e32 v45, 0x690, v24
	v_add_nc_u32_e32 v19, 0x618, v24
	v_mad_co_u64_u32 v[5:6], null, s18, v16, 0
	v_mov_b32_e32 v4, v34
	v_mad_co_u64_u32 v[10:11], null, s18, v17, 0
	v_add_co_u32 v2, s0, v0, v2
	s_wait_alu 0xf1ff
	v_add_co_ci_u32_e64 v3, s0, v1, v3, s0
	v_mad_co_u64_u32 v[7:8], null, s19, v26, v[4:5]
	v_lshlrev_b64_e32 v[8:9], 2, v[30:31]
	v_mov_b32_e32 v4, v6
	v_mad_co_u64_u32 v[46:47], null, s18, v45, 0
	s_delay_alu instid0(VALU_DEP_4) | instskip(NEXT) | instid1(VALU_DEP_3)
	v_mov_b32_e32 v34, v7
	v_mad_co_u64_u32 v[6:7], null, s19, v16, v[4:5]
	v_add_co_u32 v7, s0, v0, v8
	s_wait_alu 0xf1ff
	v_add_co_ci_u32_e64 v8, s0, v1, v9, s0
	v_dual_mov_b32 v4, v11 :: v_dual_add_nc_u32 v9, 0x4b0, v24
	v_lshlrev_b64_e32 v[12:13], 2, v[33:34]
	v_or_b32_e32 v33, 0x780, v24
	s_delay_alu instid0(VALU_DEP_3) | instskip(NEXT) | instid1(VALU_DEP_4)
	v_mad_co_u64_u32 v[14:15], null, s18, v9, 0
	v_mad_co_u64_u32 v[17:18], null, s19, v17, v[4:5]
	v_lshlrev_b64_e32 v[4:5], 2, v[5:6]
	s_delay_alu instid0(VALU_DEP_4) | instskip(SKIP_1) | instid1(VALU_DEP_4)
	v_mad_co_u64_u32 v[30:31], null, s18, v33, 0
	v_add_co_u32 v12, s0, v0, v12
	v_dual_mov_b32 v6, v15 :: v_dual_mov_b32 v11, v17
	v_mad_co_u64_u32 v[17:18], null, s18, v19, 0
	s_wait_alu 0xf1ff
	v_add_co_ci_u32_e64 v13, s0, v1, v13, s0
	s_delay_alu instid0(VALU_DEP_3)
	v_mad_co_u64_u32 v[27:28], null, s19, v9, v[6:7]
	v_lshlrev_b64_e32 v[9:10], 2, v[10:11]
	v_add_co_u32 v4, s0, v0, v4
	v_mov_b32_e32 v6, v18
	s_wait_alu 0xf1ff
	v_add_co_ci_u32_e64 v5, s0, v1, v5, s0
	v_mov_b32_e32 v15, v27
	v_add_co_u32 v27, s0, v0, v9
	v_mad_co_u64_u32 v[18:19], null, s19, v19, v[6:7]
	v_dual_mov_b32 v6, v31 :: v_dual_add_nc_u32 v11, 0x8e8, v24
	s_wait_alu 0xf1ff
	v_add_co_ci_u32_e64 v28, s0, v1, v10, s0
	v_lshlrev_b64_e32 v[9:10], 2, v[14:15]
	s_delay_alu instid0(VALU_DEP_3) | instskip(SKIP_2) | instid1(VALU_DEP_4)
	v_mad_co_u64_u32 v[14:15], null, s19, v33, v[6:7]
	v_mad_co_u64_u32 v[33:34], null, s18, v11, 0
	v_add_nc_u32_e32 v19, 0xa50, v24
	v_add_co_u32 v35, s0, v0, v9
	s_wait_alu 0xf1ff
	v_add_co_ci_u32_e64 v36, s0, v1, v10, s0
	v_mov_b32_e32 v31, v14
	v_mad_co_u64_u32 v[14:15], null, s18, v19, 0
	v_lshlrev_b64_e32 v[9:10], 2, v[17:18]
	v_mov_b32_e32 v6, v34
	s_delay_alu instid0(VALU_DEP_4) | instskip(NEXT) | instid1(VALU_DEP_2)
	v_lshlrev_b64_e32 v[17:18], 2, v[30:31]
	v_mad_co_u64_u32 v[30:31], null, s19, v11, v[6:7]
	s_delay_alu instid0(VALU_DEP_4)
	v_add_co_u32 v37, s0, v0, v9
	v_mov_b32_e32 v6, v15
	s_wait_alu 0xf1ff
	v_add_co_ci_u32_e64 v38, s0, v1, v10, s0
	v_add_co_u32 v17, s0, v0, v17
	s_wait_alu 0xf1ff
	v_add_co_ci_u32_e64 v18, s0, v1, v18, s0
	v_mad_co_u64_u32 v[9:10], null, s19, v19, v[6:7]
	s_clause 0x7
	global_load_b32 v57, v[2:3], off
	global_load_b32 v55, v[7:8], off
	;; [unrolled: 1-line block ×8, first 2 shown]
	v_dual_mov_b32 v34, v30 :: v_dual_add_nc_u32 v11, 0xbb8, v24
	v_add_nc_u32_e32 v17, 0xd20, v24
	v_add_nc_u32_e32 v27, 0xf0, v24
	;; [unrolled: 1-line block ×3, first 2 shown]
	s_delay_alu instid0(VALU_DEP_4) | instskip(SKIP_3) | instid1(VALU_DEP_4)
	v_mad_co_u64_u32 v[30:31], null, s18, v11, 0
	v_lshlrev_b64_e32 v[3:4], 2, v[33:34]
	v_mov_b32_e32 v15, v9
	v_mad_co_u64_u32 v[8:9], null, s18, v17, 0
	v_mov_b32_e32 v2, v31
	s_delay_alu instid0(VALU_DEP_1) | instskip(SKIP_4) | instid1(VALU_DEP_4)
	v_mad_co_u64_u32 v[5:6], null, s19, v11, v[2:3]
	v_add_co_u32 v2, s0, v0, v3
	s_wait_alu 0xf1ff
	v_add_co_ci_u32_e64 v3, s0, v1, v4, s0
	v_lshlrev_b64_e32 v[11:12], 2, v[14:15]
	v_dual_mov_b32 v4, v9 :: v_dual_mov_b32 v31, v5
	v_mad_co_u64_u32 v[5:6], null, s18, v27, 0
	v_mad_co_u64_u32 v[13:14], null, s18, v28, 0
	s_delay_alu instid0(VALU_DEP_3)
	v_lshlrev_b64_e32 v[30:31], 2, v[30:31]
	v_add_co_u32 v11, s0, v0, v11
	s_wait_alu 0xf1ff
	v_add_co_ci_u32_e64 v12, s0, v1, v12, s0
	v_mad_co_u64_u32 v[33:34], null, s19, v17, v[4:5]
	v_mov_b32_e32 v4, v6
	v_dual_mov_b32 v6, v14 :: v_dual_add_nc_u32 v17, 0x3c0, v24
	v_add_co_u32 v30, s0, v0, v30
	s_delay_alu instid0(VALU_DEP_3) | instskip(SKIP_3) | instid1(VALU_DEP_2)
	v_mad_co_u64_u32 v[14:15], null, s19, v27, v[4:5]
	v_mov_b32_e32 v9, v33
	s_wait_alu 0xf1ff
	v_add_co_ci_u32_e64 v31, s0, v1, v31, s0
	v_lshlrev_b64_e32 v[8:9], 2, v[8:9]
	s_delay_alu instid0(VALU_DEP_1) | instskip(SKIP_1) | instid1(VALU_DEP_2)
	v_add_co_u32 v8, s0, v0, v8
	s_wait_alu 0xf1ff
	v_add_co_ci_u32_e64 v9, s0, v1, v9, s0
	s_wait_loadcnt 0xd
	v_lshrrev_b32_e32 v71, 16, v53
	s_wait_loadcnt 0xc
	v_lshrrev_b32_e32 v67, 16, v42
	s_wait_loadcnt 0xb
	v_lshrrev_b32_e32 v70, 16, v51
	s_wait_loadcnt 0xa
	v_lshrrev_b32_e32 v66, 16, v40
	s_wait_loadcnt 0x9
	v_lshrrev_b32_e32 v69, 16, v49
	s_wait_loadcnt 0x8
	v_lshrrev_b32_e32 v65, 16, v39
	s_wait_loadcnt 0x7
	v_lshrrev_b32_e32 v68, 16, v57
	s_wait_loadcnt 0x6
	v_lshrrev_b32_e32 v64, 16, v55
	s_wait_loadcnt 0x5
	v_mad_co_u64_u32 v[33:34], null, s19, v28, v[6:7]
	v_add_nc_u32_e32 v28, 0x528, v24
	v_mov_b32_e32 v6, v14
	s_wait_loadcnt 0x2
	v_lshrrev_b32_e32 v52, 16, v19
	s_wait_loadcnt 0x0
	v_lshrrev_b32_e32 v50, 16, v18
	v_mad_co_u64_u32 v[35:36], null, s18, v28, 0
	v_mov_b32_e32 v14, v33
	v_mad_co_u64_u32 v[33:34], null, s18, v17, 0
	v_lshlrev_b64_e32 v[4:5], 2, v[5:6]
	s_delay_alu instid0(VALU_DEP_3) | instskip(NEXT) | instid1(VALU_DEP_3)
	v_lshlrev_b64_e32 v[13:14], 2, v[13:14]
	v_dual_mov_b32 v15, v36 :: v_dual_mov_b32 v6, v34
	s_delay_alu instid0(VALU_DEP_3) | instskip(NEXT) | instid1(VALU_DEP_2)
	v_add_co_u32 v4, s0, v0, v4
	v_mad_co_u64_u32 v[43:44], null, s19, v28, v[15:16]
	s_delay_alu instid0(VALU_DEP_3) | instskip(SKIP_4) | instid1(VALU_DEP_4)
	v_mad_co_u64_u32 v[36:37], null, s19, v17, v[6:7]
	v_dual_mov_b32 v6, v47 :: v_dual_add_nc_u32 v15, 0x7f8, v24
	s_wait_alu 0xf1ff
	v_add_co_ci_u32_e64 v5, s0, v1, v5, s0
	v_add_co_u32 v13, s0, v0, v13
	v_mov_b32_e32 v34, v36
	v_mad_co_u64_u32 v[58:59], null, s18, v15, 0
	v_mov_b32_e32 v36, v43
	v_mad_co_u64_u32 v[43:44], null, s19, v45, v[6:7]
	s_delay_alu instid0(VALU_DEP_4) | instskip(SKIP_4) | instid1(VALU_DEP_4)
	v_lshlrev_b64_e32 v[33:34], 2, v[33:34]
	s_wait_alu 0xf1ff
	v_add_co_ci_u32_e64 v14, s0, v1, v14, s0
	v_lshlrev_b64_e32 v[35:36], 2, v[35:36]
	v_dual_mov_b32 v6, v59 :: v_dual_add_nc_u32 v17, 0x960, v24
	v_add_co_u32 v33, s0, v0, v33
	s_wait_alu 0xf1ff
	v_add_co_ci_u32_e64 v34, s0, v1, v34, s0
	s_delay_alu instid0(VALU_DEP_4)
	v_add_co_u32 v35, s0, v0, v35
	v_mov_b32_e32 v47, v43
	v_mad_co_u64_u32 v[43:44], null, s19, v15, v[6:7]
	s_wait_alu 0xf1ff
	v_add_co_ci_u32_e64 v36, s0, v1, v36, s0
	s_clause 0x7
	global_load_b32 v54, v[2:3], off
	global_load_b32 v45, v[11:12], off
	;; [unrolled: 1-line block ×8, first 2 shown]
	v_mad_co_u64_u32 v[60:61], null, s18, v17, 0
	v_add_nc_u32_e32 v37, 0xac8, v24
	v_dual_mov_b32 v59, v43 :: v_dual_add_nc_u32 v6, 0xc30, v24
	v_lshlrev_b64_e32 v[8:9], 2, v[46:47]
	v_lshrrev_b32_e32 v43, 16, v7
	s_delay_alu instid0(VALU_DEP_4)
	v_mad_co_u64_u32 v[62:63], null, s18, v37, 0
	v_mov_b32_e32 v2, v61
	v_lshlrev_b64_e32 v[33:34], 2, v[58:59]
	v_add_co_u32 v8, s0, v0, v8
	s_wait_alu 0xf1ff
	v_add_co_ci_u32_e64 v9, s0, v1, v9, s0
	s_wait_loadcnt 0x7
	v_lshrrev_b32_e32 v59, 16, v54
	s_wait_loadcnt 0x6
	v_lshrrev_b32_e32 v48, 16, v45
	;; [unrolled: 2-line block ×3, first 2 shown]
	s_wait_loadcnt 0x3
	v_mad_co_u64_u32 v[11:12], null, s19, v17, v[2:3]
	v_dual_mov_b32 v2, v63 :: v_dual_add_nc_u32 v17, 0xd98, v24
	v_mad_co_u64_u32 v[12:13], null, s18, v6, 0
	s_delay_alu instid0(VALU_DEP_2) | instskip(NEXT) | instid1(VALU_DEP_3)
	v_mad_co_u64_u32 v[14:15], null, s19, v37, v[2:3]
	v_mad_co_u64_u32 v[30:31], null, s18, v17, 0
	s_delay_alu instid0(VALU_DEP_3) | instskip(NEXT) | instid1(VALU_DEP_3)
	v_dual_mov_b32 v61, v11 :: v_dual_mov_b32 v2, v13
	v_mov_b32_e32 v63, v14
	s_delay_alu instid0(VALU_DEP_2) | instskip(NEXT) | instid1(VALU_DEP_4)
	v_mad_co_u64_u32 v[13:14], null, s19, v6, v[2:3]
	v_mov_b32_e32 v2, v31
	v_add_co_u32 v14, s0, v0, v33
	s_wait_alu 0xf1ff
	v_add_co_ci_u32_e64 v15, s0, v1, v34, s0
	s_delay_alu instid0(VALU_DEP_3)
	v_mad_co_u64_u32 v[35:36], null, s19, v17, v[2:3]
	v_lshlrev_b64_e32 v[33:34], 2, v[60:61]
	v_lshlrev_b64_e32 v[36:37], 2, v[62:63]
	v_lshlrev_b64_e32 v[11:12], 2, v[12:13]
	v_lshrrev_b32_e32 v62, 16, v29
	v_lshrrev_b32_e32 v63, 16, v32
	;; [unrolled: 1-line block ×3, first 2 shown]
	v_mov_b32_e32 v31, v35
	v_add_co_u32 v33, s0, v0, v33
	s_wait_alu 0xf1ff
	v_add_co_ci_u32_e64 v34, s0, v1, v34, s0
	v_add_co_u32 v35, s0, v0, v36
	v_lshlrev_b64_e32 v[30:31], 2, v[30:31]
	s_wait_alu 0xf1ff
	v_add_co_ci_u32_e64 v36, s0, v1, v37, s0
	v_add_co_u32 v46, s0, v0, v11
	s_wait_alu 0xf1ff
	v_add_co_ci_u32_e64 v47, s0, v1, v12, s0
	v_add_co_u32 v0, s0, v0, v30
	s_wait_alu 0xf1ff
	v_add_co_ci_u32_e64 v1, s0, v1, v31, s0
	s_clause 0x5
	global_load_b32 v31, v[8:9], off
	global_load_b32 v14, v[14:15], off
	;; [unrolled: 1-line block ×6, first 2 shown]
	v_lshrrev_b32_e32 v46, 16, v10
	v_lshrrev_b32_e32 v60, 16, v38
	v_lshrrev_b32_e32 v47, 16, v44
	v_lshrrev_b32_e32 v6, 16, v3
	s_wait_loadcnt 0x8
	v_lshrrev_b32_e32 v8, 16, v4
	s_wait_loadcnt 0x7
	v_lshrrev_b32_e32 v37, 16, v28
	;; [unrolled: 2-line block ×9, first 2 shown]
.LBB0_13:
	s_or_b32 exec_lo, exec_lo, s1
	v_add_f16_e32 v1, v53, v29
	v_add_f16_e32 v0, v49, v51
	v_sub_f16_e32 v2, v71, v68
	v_add_f16_e32 v75, v57, v53
	v_sub_f16_e32 v72, v70, v69
	v_add_f16_e32 v1, v51, v1
	v_fma_f16 v73, -0.5, v0, v29
	v_sub_f16_e32 v0, v53, v51
	v_sub_f16_e32 v74, v57, v49
	v_fmac_f16_e32 v29, -0.5, v75
	v_add_f16_e32 v1, v49, v1
	v_fmamk_f16 v76, v2, 0xbb9c, v73
	v_fmac_f16_e32 v73, 0x3b9c, v2
	v_sub_f16_e32 v77, v51, v53
	v_add_f16_e32 v0, v74, v0
	v_add_f16_e32 v78, v57, v1
	;; [unrolled: 1-line block ×3, first 2 shown]
	v_fmac_f16_e32 v76, 0xb8b4, v72
	v_sub_f16_e32 v74, v49, v57
	v_fmamk_f16 v75, v72, 0x3b9c, v29
	v_fmac_f16_e32 v73, 0x38b4, v72
	v_add_f16_e32 v79, v69, v70
	v_fmac_f16_e32 v29, 0xbb9c, v72
	v_add_f16_e32 v1, v70, v1
	v_fmac_f16_e32 v76, 0x34f2, v0
	v_fmac_f16_e32 v75, 0xb8b4, v2
	v_add_f16_e32 v74, v74, v77
	v_fma_f16 v77, -0.5, v79, v62
	v_sub_f16_e32 v53, v53, v57
	v_fmac_f16_e32 v73, 0x34f2, v0
	v_fmac_f16_e32 v29, 0x38b4, v2
	v_add_f16_e32 v0, v69, v1
	v_add_f16_e32 v1, v68, v71
	v_sub_f16_e32 v2, v51, v49
	v_sub_f16_e32 v49, v71, v70
	;; [unrolled: 1-line block ×3, first 2 shown]
	v_fmac_f16_e32 v75, 0x34f2, v74
	v_fmamk_f16 v72, v53, 0x3b9c, v77
	v_fmac_f16_e32 v29, 0x34f2, v74
	v_fmac_f16_e32 v62, -0.5, v1
	v_add_f16_e32 v74, v68, v0
	v_add_f16_e32 v0, v51, v49
	v_fmac_f16_e32 v77, 0xbb9c, v53
	v_sub_f16_e32 v1, v70, v71
	v_sub_f16_e32 v49, v69, v68
	v_add_f16_e32 v51, v42, v32
	v_fmac_f16_e32 v72, 0x38b4, v2
	v_fmamk_f16 v79, v2, 0xbb9c, v62
	v_fmac_f16_e32 v77, 0xb8b4, v2
	v_add_f16_e32 v1, v49, v1
	v_fmac_f16_e32 v62, 0x3b9c, v2
	v_add_f16_e32 v2, v40, v51
	v_add_f16_e32 v49, v39, v40
	v_fmac_f16_e32 v72, 0x34f2, v0
	v_fmac_f16_e32 v79, 0x38b4, v53
	;; [unrolled: 1-line block ×4, first 2 shown]
	v_add_f16_e32 v0, v39, v2
	v_fma_f16 v2, -0.5, v49, v32
	v_add_f16_e32 v49, v55, v42
	v_sub_f16_e32 v51, v67, v64
	v_fmac_f16_e32 v79, 0x34f2, v1
	v_fmac_f16_e32 v62, 0x34f2, v1
	v_add_f16_e32 v53, v55, v0
	v_sub_f16_e32 v0, v66, v65
	v_fmac_f16_e32 v32, -0.5, v49
	v_fmamk_f16 v1, v51, 0xbb9c, v2
	v_sub_f16_e32 v49, v42, v40
	v_sub_f16_e32 v57, v55, v39
	v_fmac_f16_e32 v2, 0x3b9c, v51
	v_fmamk_f16 v68, v0, 0x3b9c, v32
	v_fmac_f16_e32 v1, 0xb8b4, v0
	v_fmac_f16_e32 v32, 0xbb9c, v0
	v_add_f16_e32 v49, v57, v49
	v_fmac_f16_e32 v2, 0x38b4, v0
	v_add_f16_e32 v0, v65, v66
	v_sub_f16_e32 v69, v40, v42
	v_sub_f16_e32 v70, v39, v55
	v_fmac_f16_e32 v1, 0x34f2, v49
	v_fmac_f16_e32 v2, 0x34f2, v49
	v_add_f16_e32 v49, v64, v67
	v_fma_f16 v0, -0.5, v0, v63
	v_sub_f16_e32 v42, v42, v55
	v_fmac_f16_e32 v68, 0xb8b4, v51
	v_add_f16_e32 v57, v70, v69
	v_fmac_f16_e32 v32, 0x38b4, v51
	v_add_f16_e32 v51, v67, v63
	v_sub_f16_e32 v39, v40, v39
	v_fmac_f16_e32 v63, -0.5, v49
	v_fmamk_f16 v55, v42, 0x3b9c, v0
	v_sub_f16_e32 v40, v67, v66
	v_sub_f16_e32 v49, v64, v65
	v_fmac_f16_e32 v68, 0x34f2, v57
	v_fmac_f16_e32 v32, 0x34f2, v57
	v_fmamk_f16 v57, v39, 0xbb9c, v63
	v_sub_f16_e32 v67, v66, v67
	v_sub_f16_e32 v69, v65, v64
	v_fmac_f16_e32 v63, 0x3b9c, v39
	v_fmac_f16_e32 v55, 0x38b4, v39
	v_add_f16_e32 v40, v49, v40
	v_fmac_f16_e32 v57, 0x38b4, v42
	v_add_f16_e32 v49, v69, v67
	v_fmac_f16_e32 v63, 0xb8b4, v42
	v_fmac_f16_e32 v0, 0xbb9c, v42
	v_add_f16_e32 v42, v66, v51
	v_fmac_f16_e32 v55, 0x34f2, v40
	v_fmac_f16_e32 v57, 0x34f2, v49
	;; [unrolled: 1-line block ×4, first 2 shown]
	v_add_f16_e32 v39, v65, v42
	v_mul_f16_e32 v65, 0xb8b4, v55
	v_mul_f16_e32 v67, 0xbb9c, v57
	;; [unrolled: 1-line block ×3, first 2 shown]
	v_fmac_f16_e32 v0, 0x34f2, v40
	v_mul_f16_e32 v63, 0xb4f2, v63
	v_fmac_f16_e32 v65, 0x3a79, v1
	v_add_f16_e32 v64, v64, v39
	v_fmac_f16_e32 v67, 0x34f2, v68
	v_fmac_f16_e32 v69, 0xb4f2, v32
	v_mul_f16_e32 v70, 0xb8b4, v0
	v_add_f16_e32 v39, v53, v78
	v_add_f16_e32 v40, v76, v65
	v_mul_f16_e32 v80, 0x3b9c, v68
	v_fmac_f16_e32 v63, 0x3b9c, v32
	v_sub_f16_e32 v32, v78, v53
	v_sub_f16_e32 v53, v76, v65
	v_add_f16_e32 v65, v54, v38
	v_add_f16_e32 v42, v75, v67
	v_fmac_f16_e32 v70, 0xba79, v2
	v_mul_f16_e32 v71, 0x38b4, v1
	v_mul_f16_e32 v81, 0xba79, v0
	v_fmac_f16_e32 v80, 0x34f2, v57
	v_sub_f16_e32 v57, v75, v67
	v_add_f16_e32 v67, v41, v7
	v_fma_f16 v65, -0.5, v65, v7
	v_sub_f16_e32 v75, v61, v58
	v_add_f16_e32 v78, v56, v41
	v_add_f16_e32 v49, v29, v69
	;; [unrolled: 1-line block ×3, first 2 shown]
	v_fmac_f16_e32 v71, 0x3a79, v55
	v_fmac_f16_e32 v81, 0x38b4, v2
	v_add_f16_e32 v0, v64, v74
	v_sub_f16_e32 v29, v29, v69
	v_sub_f16_e32 v55, v73, v70
	;; [unrolled: 1-line block ×3, first 2 shown]
	v_add_f16_e32 v64, v38, v67
	v_fmamk_f16 v67, v75, 0xbb9c, v65
	v_sub_f16_e32 v74, v60, v59
	v_sub_f16_e32 v73, v41, v38
	;; [unrolled: 1-line block ×3, first 2 shown]
	v_fmac_f16_e32 v7, -0.5, v78
	v_fmac_f16_e32 v65, 0x3b9c, v75
	v_add_f16_e32 v78, v61, v43
	v_add_f16_e32 v1, v72, v71
	;; [unrolled: 1-line block ×5, first 2 shown]
	v_sub_f16_e32 v70, v72, v71
	v_sub_f16_e32 v71, v79, v80
	;; [unrolled: 1-line block ×3, first 2 shown]
	v_add_f16_e32 v62, v54, v64
	v_fmac_f16_e32 v67, 0xb8b4, v74
	v_add_f16_e32 v63, v76, v73
	v_sub_f16_e32 v73, v77, v81
	v_fmamk_f16 v64, v74, 0x3b9c, v7
	v_sub_f16_e32 v76, v38, v41
	v_sub_f16_e32 v77, v54, v56
	v_fmac_f16_e32 v65, 0x38b4, v74
	v_add_f16_e32 v79, v59, v60
	v_fmac_f16_e32 v7, 0xbb9c, v74
	v_add_f16_e32 v74, v60, v78
	v_add_f16_e32 v62, v56, v62
	;; [unrolled: 1-line block ×3, first 2 shown]
	v_fma_f16 v77, -0.5, v79, v43
	v_sub_f16_e32 v41, v41, v56
	v_add_f16_e32 v56, v59, v74
	v_add_f16_e32 v74, v58, v61
	v_fmac_f16_e32 v67, 0x34f2, v63
	v_fmac_f16_e32 v64, 0xb8b4, v75
	v_fmac_f16_e32 v65, 0x34f2, v63
	v_fmac_f16_e32 v7, 0x38b4, v75
	v_fmamk_f16 v63, v41, 0x3b9c, v77
	v_sub_f16_e32 v38, v38, v54
	v_sub_f16_e32 v54, v61, v60
	;; [unrolled: 1-line block ×3, first 2 shown]
	v_fmac_f16_e32 v43, -0.5, v74
	v_add_f16_e32 v56, v58, v56
	v_fmac_f16_e32 v77, 0xbb9c, v41
	v_sub_f16_e32 v58, v59, v58
	v_add_f16_e32 v59, v19, v10
	v_fmac_f16_e32 v63, 0x38b4, v38
	v_add_f16_e32 v54, v75, v54
	v_fmamk_f16 v74, v38, 0xbb9c, v43
	v_sub_f16_e32 v60, v60, v61
	v_fmac_f16_e32 v77, 0xb8b4, v38
	v_fmac_f16_e32 v43, 0x3b9c, v38
	v_add_f16_e32 v38, v18, v59
	v_add_f16_e32 v59, v45, v18
	v_fmac_f16_e32 v63, 0x34f2, v54
	v_fmac_f16_e32 v74, 0x38b4, v41
	v_add_f16_e32 v58, v58, v60
	v_fmac_f16_e32 v77, 0x34f2, v54
	v_fmac_f16_e32 v43, 0xb8b4, v41
	v_fma_f16 v41, -0.5, v59, v10
	v_add_f16_e32 v54, v44, v19
	v_sub_f16_e32 v59, v52, v47
	v_fmac_f16_e32 v74, 0x34f2, v58
	v_fmac_f16_e32 v43, 0x34f2, v58
	v_sub_f16_e32 v58, v50, v48
	v_fmac_f16_e32 v10, -0.5, v54
	v_fmamk_f16 v54, v59, 0xbb9c, v41
	v_fmac_f16_e32 v41, 0x3b9c, v59
	v_sub_f16_e32 v60, v19, v18
	v_sub_f16_e32 v61, v44, v45
	v_fmamk_f16 v75, v58, 0x3b9c, v10
	v_fmac_f16_e32 v54, 0xb8b4, v58
	v_fmac_f16_e32 v41, 0x38b4, v58
	;; [unrolled: 1-line block ×3, first 2 shown]
	v_add_f16_e32 v58, v48, v50
	v_fmac_f16_e32 v64, 0x34f2, v76
	v_fmac_f16_e32 v7, 0x34f2, v76
	v_add_f16_e32 v38, v45, v38
	v_sub_f16_e32 v76, v18, v19
	v_sub_f16_e32 v78, v45, v44
	v_add_f16_e32 v60, v61, v60
	v_fmac_f16_e32 v75, 0xb8b4, v59
	v_fmac_f16_e32 v10, 0x38b4, v59
	v_add_f16_e32 v59, v47, v52
	v_fma_f16 v58, -0.5, v58, v46
	v_sub_f16_e32 v19, v19, v44
	v_add_f16_e32 v38, v44, v38
	v_add_f16_e32 v61, v78, v76
	v_fmac_f16_e32 v54, 0x34f2, v60
	v_fmac_f16_e32 v41, 0x34f2, v60
	v_add_f16_e32 v44, v52, v46
	v_sub_f16_e32 v18, v18, v45
	v_fmac_f16_e32 v46, -0.5, v59
	v_fmamk_f16 v45, v19, 0x3b9c, v58
	v_sub_f16_e32 v59, v52, v50
	v_sub_f16_e32 v60, v47, v48
	v_fmac_f16_e32 v75, 0x34f2, v61
	v_fmac_f16_e32 v10, 0x34f2, v61
	v_fmamk_f16 v61, v18, 0xbb9c, v46
	v_sub_f16_e32 v52, v50, v52
	v_sub_f16_e32 v76, v48, v47
	v_fmac_f16_e32 v46, 0x3b9c, v18
	v_fmac_f16_e32 v45, 0x38b4, v18
	v_add_f16_e32 v59, v60, v59
	v_fmac_f16_e32 v58, 0xbb9c, v19
	v_fmac_f16_e32 v61, 0x38b4, v19
	v_add_f16_e32 v52, v76, v52
	v_fmac_f16_e32 v46, 0xb8b4, v19
	v_add_f16_e32 v19, v50, v44
	v_fmac_f16_e32 v45, 0x34f2, v59
	v_fmac_f16_e32 v58, 0xb8b4, v18
	v_fmac_f16_e32 v61, 0x34f2, v52
	v_fmac_f16_e32 v46, 0x34f2, v52
	v_add_f16_e32 v18, v48, v19
	v_mul_f16_e32 v19, 0xb8b4, v45
	v_fmac_f16_e32 v58, 0x34f2, v59
	v_mul_f16_e32 v44, 0xbb9c, v61
	v_mul_f16_e32 v48, 0xbb9c, v46
	v_add_f16_e32 v18, v47, v18
	v_fmac_f16_e32 v19, 0x3a79, v54
	v_mul_f16_e32 v47, 0xb8b4, v58
	v_mul_f16_e32 v54, 0x38b4, v54
	;; [unrolled: 1-line block ×3, first 2 shown]
	v_fmac_f16_e32 v44, 0x34f2, v75
	v_fmac_f16_e32 v48, 0xb4f2, v10
	v_add_f16_e32 v50, v38, v62
	v_fmac_f16_e32 v47, 0xba79, v41
	v_mul_f16_e32 v75, 0x3b9c, v75
	v_mul_f16_e32 v46, 0xb4f2, v46
	v_fmac_f16_e32 v54, 0x3a79, v45
	v_fmac_f16_e32 v58, 0x38b4, v41
	v_sub_f16_e32 v38, v62, v38
	v_add_f16_e32 v41, v30, v31
	v_add_f16_e32 v62, v35, v28
	;; [unrolled: 1-line block ×4, first 2 shown]
	v_fmac_f16_e32 v75, 0x34f2, v61
	v_fmac_f16_e32 v46, 0x3b9c, v10
	v_add_f16_e32 v10, v18, v56
	v_add_f16_e32 v78, v63, v54
	v_sub_f16_e32 v7, v7, v48
	v_sub_f16_e32 v45, v65, v47
	v_add_f16_e32 v47, v28, v3
	v_fma_f16 v41, -0.5, v41, v3
	v_sub_f16_e32 v48, v37, v33
	v_sub_f16_e32 v82, v56, v18
	;; [unrolled: 1-line block ×6, first 2 shown]
	v_fmac_f16_e32 v3, -0.5, v62
	v_add_f16_e32 v79, v74, v75
	v_add_f16_e32 v80, v43, v46
	;; [unrolled: 1-line block ×3, first 2 shown]
	v_sub_f16_e32 v74, v74, v75
	v_add_f16_e32 v18, v31, v47
	v_fmamk_f16 v47, v48, 0xbb9c, v41
	v_sub_f16_e32 v75, v43, v46
	v_add_f16_e32 v43, v61, v56
	v_sub_f16_e32 v77, v77, v58
	v_fmac_f16_e32 v41, 0x3b9c, v48
	v_fmamk_f16 v46, v54, 0x3b9c, v3
	v_sub_f16_e32 v56, v31, v28
	v_sub_f16_e32 v58, v30, v35
	v_add_f16_e32 v61, v37, v6
	v_add_f16_e32 v62, v34, v36
	v_fmac_f16_e32 v3, 0xbb9c, v54
	v_add_f16_e32 v18, v30, v18
	v_fmac_f16_e32 v47, 0xb8b4, v54
	v_fmac_f16_e32 v41, 0x38b4, v54
	;; [unrolled: 1-line block ×3, first 2 shown]
	v_add_f16_e32 v56, v58, v56
	v_add_f16_e32 v54, v36, v61
	v_fma_f16 v58, -0.5, v62, v6
	v_sub_f16_e32 v28, v28, v35
	v_fmac_f16_e32 v3, 0x38b4, v48
	v_add_f16_e32 v48, v33, v37
	v_add_f16_e32 v18, v35, v18
	v_fmac_f16_e32 v47, 0x34f2, v43
	v_fmac_f16_e32 v41, 0x34f2, v43
	v_add_f16_e32 v35, v34, v54
	v_fmamk_f16 v43, v28, 0x3b9c, v58
	v_sub_f16_e32 v30, v31, v30
	v_sub_f16_e32 v31, v37, v36
	;; [unrolled: 1-line block ×3, first 2 shown]
	v_fmac_f16_e32 v6, -0.5, v48
	v_fmac_f16_e32 v58, 0xbb9c, v28
	v_add_f16_e32 v35, v33, v35
	v_fmac_f16_e32 v43, 0x38b4, v30
	v_add_f16_e32 v31, v54, v31
	v_fmamk_f16 v48, v30, 0xbb9c, v6
	v_sub_f16_e32 v36, v36, v37
	v_sub_f16_e32 v33, v34, v33
	v_add_f16_e32 v34, v5, v4
	v_fmac_f16_e32 v58, 0xb8b4, v30
	v_fmac_f16_e32 v6, 0x3b9c, v30
	;; [unrolled: 1-line block ×4, first 2 shown]
	v_add_f16_e32 v33, v33, v36
	v_add_f16_e32 v30, v14, v34
	;; [unrolled: 1-line block ×3, first 2 shown]
	v_fmac_f16_e32 v58, 0x34f2, v31
	v_fmac_f16_e32 v6, 0xb8b4, v28
	v_add_f16_e32 v31, v13, v5
	v_fmac_f16_e32 v48, 0x34f2, v33
	v_add_f16_e32 v28, v11, v30
	v_fma_f16 v30, -0.5, v34, v4
	v_sub_f16_e32 v34, v17, v9
	v_fmac_f16_e32 v6, 0x34f2, v33
	v_sub_f16_e32 v33, v15, v12
	v_fmac_f16_e32 v4, -0.5, v31
	v_fmac_f16_e32 v46, 0x34f2, v56
	v_fmamk_f16 v31, v34, 0xbb9c, v30
	v_fmac_f16_e32 v30, 0x3b9c, v34
	v_fmac_f16_e32 v3, 0x34f2, v56
	v_fmamk_f16 v54, v33, 0x3b9c, v4
	v_fmac_f16_e32 v4, 0xbb9c, v33
	v_sub_f16_e32 v36, v5, v14
	v_sub_f16_e32 v37, v13, v11
	;; [unrolled: 1-line block ×4, first 2 shown]
	v_fmac_f16_e32 v31, 0xb8b4, v33
	v_fmac_f16_e32 v30, 0x38b4, v33
	;; [unrolled: 1-line block ×3, first 2 shown]
	v_add_f16_e32 v33, v12, v15
	v_fmac_f16_e32 v4, 0x38b4, v34
	v_add_f16_e32 v34, v9, v17
	v_add_f16_e32 v28, v13, v28
	;; [unrolled: 1-line block ×4, first 2 shown]
	v_fma_f16 v33, -0.5, v33, v8
	v_sub_f16_e32 v5, v5, v13
	v_add_f16_e32 v13, v17, v8
	v_sub_f16_e32 v11, v14, v11
	v_fmac_f16_e32 v8, -0.5, v34
	v_fmac_f16_e32 v54, 0x34f2, v37
	v_fmac_f16_e32 v4, 0x34f2, v37
	v_sub_f16_e32 v34, v17, v15
	v_sub_f16_e32 v17, v15, v17
	v_fmamk_f16 v37, v11, 0xbb9c, v8
	v_sub_f16_e32 v56, v12, v9
	v_fmac_f16_e32 v8, 0x3b9c, v11
	v_fmac_f16_e32 v31, 0x34f2, v36
	;; [unrolled: 1-line block ×3, first 2 shown]
	v_fmamk_f16 v14, v5, 0x3b9c, v33
	v_sub_f16_e32 v36, v9, v12
	v_add_f16_e32 v17, v56, v17
	v_fmac_f16_e32 v8, 0xb8b4, v5
	v_fmac_f16_e32 v33, 0xbb9c, v5
	;; [unrolled: 1-line block ×3, first 2 shown]
	v_add_f16_e32 v34, v36, v34
	v_fmac_f16_e32 v37, 0x38b4, v5
	v_fmac_f16_e32 v8, 0x34f2, v17
	v_add_f16_e32 v5, v15, v13
	v_fmac_f16_e32 v33, 0xb8b4, v11
	v_fmac_f16_e32 v14, 0x34f2, v34
	;; [unrolled: 1-line block ×3, first 2 shown]
	v_mul_f16_e32 v13, 0xbb9c, v8
	v_mul_f16_e32 v8, 0xb4f2, v8
	v_add_f16_e32 v5, v12, v5
	v_mul_f16_e32 v11, 0xb8b4, v14
	v_fmac_f16_e32 v33, 0x34f2, v34
	v_fmac_f16_e32 v13, 0xb4f2, v4
	v_mul_f16_e32 v12, 0xbb9c, v37
	v_fmac_f16_e32 v8, 0x3b9c, v4
	v_fmac_f16_e32 v11, 0x3a79, v31
	v_mul_f16_e32 v31, 0x38b4, v31
	v_add_f16_e32 v36, v3, v13
	v_sub_f16_e32 v3, v3, v13
	v_mul_u32_u24_e32 v13, 10, v24
	v_add_f16_e32 v5, v9, v5
	v_mul_f16_e32 v9, 0xb8b4, v33
	v_mul_f16_e32 v33, 0xba79, v33
	v_fmac_f16_e32 v31, 0x3a79, v14
	v_fmac_f16_e32 v12, 0x34f2, v54
	v_add_f16_e32 v15, v28, v18
	v_add_f16_e32 v84, v6, v8
	v_sub_f16_e32 v18, v18, v28
	v_sub_f16_e32 v6, v6, v8
	v_lshl_add_u32 v8, v13, 1, 0
	v_pack_b32_f16 v13, v42, v49
	v_pack_b32_f16 v28, v39, v40
	v_fmac_f16_e32 v9, 0xba79, v30
	v_fmac_f16_e32 v33, 0x38b4, v30
	v_add_f16_e32 v4, v5, v35
	v_add_f16_e32 v14, v43, v31
	v_sub_f16_e32 v5, v35, v5
	v_sub_f16_e32 v35, v43, v31
	v_pack_b32_f16 v30, v53, v57
	v_pack_b32_f16 v31, v51, v32
	v_add_f16_e32 v52, v67, v19
	v_add_f16_e32 v59, v64, v44
	v_pack_b32_f16 v29, v29, v55
	v_mul_i32_i24_e32 v32, 10, v26
	v_sub_f16_e32 v19, v67, v19
	v_sub_f16_e32 v44, v64, v44
	s_load_b64 s[2:3], s[2:3], 0x0
	v_add_f16_e32 v17, v47, v11
	v_add_f16_e32 v34, v46, v12
	ds_store_2addr_b32 v8, v28, v13 offset1:1
	ds_store_2addr_b32 v8, v31, v30 offset0:2 offset1:3
	ds_store_b32 v8, v29 offset:16
	v_mul_i32_i24_e32 v29, 10, v27
	v_add_f16_e32 v56, v41, v9
	v_sub_f16_e32 v11, v47, v11
	v_sub_f16_e32 v12, v46, v12
	;; [unrolled: 1-line block ×3, first 2 shown]
	v_lshl_add_u32 v28, v32, 1, 0
	v_pack_b32_f16 v13, v59, v60
	v_pack_b32_f16 v30, v50, v52
	;; [unrolled: 1-line block ×5, first 2 shown]
	v_lshl_add_u32 v29, v29, 1, 0
	v_pack_b32_f16 v32, v34, v36
	v_pack_b32_f16 v15, v15, v17
	;; [unrolled: 1-line block ×5, first 2 shown]
	ds_store_2addr_b32 v28, v30, v13 offset1:1
	ds_store_2addr_b32 v28, v31, v19 offset0:2 offset1:3
	ds_store_b32 v28, v7 offset:16
	ds_store_2addr_b32 v29, v15, v32 offset1:1
	ds_store_2addr_b32 v29, v12, v11 offset0:2 offset1:3
	ds_store_b32 v29, v3 offset:16
	v_and_b32_e32 v3, 0xff, v24
	v_mul_f16_e32 v54, 0x3b9c, v54
	v_mad_i32_i24 v30, 0xffffffee, v24, v8
	v_pack_b32_f16 v7, v66, v68
	v_pack_b32_f16 v0, v0, v1
	v_mul_lo_u16 v3, 0xcd, v3
	v_fmac_f16_e32 v54, 0x34f2, v37
	v_pack_b32_f16 v1, v70, v71
	v_pack_b32_f16 v2, v2, v69
	v_mad_i32_i24 v17, 0xffffffee, v26, v28
	v_lshrrev_b16 v34, 11, v3
	v_pack_b32_f16 v3, v72, v73
	v_lshl_add_u32 v31, v25, 1, 0
	v_add_f16_e32 v37, v48, v54
	v_add_f16_e32 v85, v58, v33
	v_mul_lo_u16 v9, v34, 10
	v_sub_f16_e32 v86, v48, v54
	v_sub_f16_e32 v87, v58, v33
	global_wb scope:SCOPE_SE
	s_wait_dscnt 0x0
	s_wait_kmcnt 0x0
	s_barrier_signal -1
	s_barrier_wait -1
	global_inv scope:SCOPE_SE
	v_mad_i32_i24 v18, 0xffffffee, v27, v29
	ds_load_u16 v39, v30
	ds_load_u16 v54, v30 offset:960
	ds_load_u16 v49, v30 offset:4560
	;; [unrolled: 1-line block ×4, first 2 shown]
	ds_load_u16 v32, v18
	ds_load_u16 v51, v30 offset:2400
	ds_load_u16 v61, v30 offset:2160
	ds_load_u16 v45, v30 offset:1920
	ds_load_u16 v55, v30 offset:1680
	ds_load_u16 v64, v30 offset:1440
	ds_load_u16 v47, v30 offset:1200
	ds_load_u16 v58, v30 offset:4320
	ds_load_u16 v43, v30 offset:4080
	ds_load_u16 v52, v30 offset:3840
	ds_load_u16 v60, v30 offset:3600
	ds_load_u16 v46, v30 offset:3360
	ds_load_u16 v56, v30 offset:3120
	ds_load_u16 v62, v30 offset:2880
	ds_load_u16 v48, v30 offset:2640
	ds_load_u16 v42, v30 offset:6240
	ds_load_u16 v50, v30 offset:6000
	ds_load_u16 v59, v30 offset:5760
	ds_load_u16 v44, v30 offset:5520
	ds_load_u16 v63, v30 offset:5280
	ds_load_u16 v65, v30 offset:5040
	ds_load_u16 v57, v30 offset:4800
	ds_load_u16 v38, v17
	ds_load_u16 v67, v31
	ds_load_u16 v53, v30 offset:6960
	global_wb scope:SCOPE_SE
	s_wait_dscnt 0x0
	s_barrier_signal -1
	s_barrier_wait -1
	global_inv scope:SCOPE_SE
	ds_store_2addr_b32 v8, v0, v7 offset1:1
	ds_store_2addr_b32 v8, v2, v1 offset0:2 offset1:3
	ds_store_b32 v8, v3 offset:16
	v_sub_nc_u16 v2, v24, v9
	v_pack_b32_f16 v1, v10, v78
	v_pack_b32_f16 v0, v79, v80
	v_pack_b32_f16 v3, v83, v74
	v_pack_b32_f16 v7, v81, v82
	v_and_b32_e32 v33, 0xff, v2
	v_pack_b32_f16 v8, v75, v77
	v_pack_b32_f16 v9, v37, v84
	;; [unrolled: 1-line block ×4, first 2 shown]
	v_mul_u32_u24_e32 v10, 9, v33
	v_pack_b32_f16 v5, v85, v5
	v_pack_b32_f16 v6, v6, v87
	ds_store_2addr_b32 v28, v1, v0 offset1:1
	ds_store_2addr_b32 v28, v7, v3 offset0:2 offset1:3
	ds_store_b32 v28, v8 offset:16
	ds_store_2addr_b32 v29, v2, v9 offset1:1
	ds_store_2addr_b32 v29, v5, v4 offset0:2 offset1:3
	ds_store_b32 v29, v6 offset:16
	global_wb scope:SCOPE_SE
	s_wait_dscnt 0x0
	v_lshlrev_b32_e32 v66, 2, v10
	s_barrier_signal -1
	s_barrier_wait -1
	global_inv scope:SCOPE_SE
	v_and_b32_e32 v19, 0xff, v26
	s_clause 0x1
	global_load_b128 v[0:3], v66, s[8:9]
	global_load_b128 v[8:11], v66, s[8:9] offset:16
	v_and_b32_e32 v37, 0xffff, v27
	v_cmp_gt_u32_e64 s0, 0x64, v24
	v_mul_lo_u16 v4, 0xcd, v19
	s_delay_alu instid0(VALU_DEP_3) | instskip(NEXT) | instid1(VALU_DEP_2)
	v_mul_u32_u24_e32 v37, 0xcccd, v37
	v_lshrrev_b16 v36, 11, v4
	s_delay_alu instid0(VALU_DEP_2) | instskip(NEXT) | instid1(VALU_DEP_2)
	v_lshrrev_b32_e32 v37, 19, v37
	v_mul_lo_u16 v4, v36, 10
	s_delay_alu instid0(VALU_DEP_2) | instskip(NEXT) | instid1(VALU_DEP_2)
	v_mul_lo_u16 v69, v37, 10
	v_sub_nc_u16 v4, v26, v4
	s_delay_alu instid0(VALU_DEP_2) | instskip(NEXT) | instid1(VALU_DEP_2)
	v_sub_nc_u16 v69, v27, v69
	v_and_b32_e32 v35, 0xff, v4
	s_delay_alu instid0(VALU_DEP_1) | instskip(NEXT) | instid1(VALU_DEP_1)
	v_mul_u32_u24_e32 v4, 9, v35
	v_lshlrev_b32_e32 v68, 2, v4
	s_clause 0x1
	global_load_b128 v[4:7], v68, s[8:9]
	global_load_b128 v[12:15], v68, s[8:9] offset:16
	ds_load_u16 v74, v31
	ds_load_u16 v70, v30 offset:2880
	ds_load_u16 v73, v30 offset:1440
	;; [unrolled: 1-line block ×3, first 2 shown]
	ds_load_u16 v71, v17
	ds_load_u16 v77, v18
	ds_load_u16 v78, v30 offset:6960
	ds_load_u16 v80, v30 offset:3600
	;; [unrolled: 1-line block ×7, first 2 shown]
	s_wait_loadcnt 0x3
	v_lshrrev_b32_e32 v76, 16, v0
	v_lshrrev_b32_e32 v75, 16, v1
	;; [unrolled: 1-line block ×3, first 2 shown]
	s_wait_dscnt 0xc
	s_delay_alu instid0(VALU_DEP_3) | instskip(SKIP_3) | instid1(VALU_DEP_3)
	v_mul_f16_e32 v79, v74, v76
	v_mul_f16_e32 v76, v67, v76
	s_wait_dscnt 0xa
	v_mul_f16_e32 v86, v73, v75
	v_fmac_f16_e32 v79, v67, v0
	ds_load_u16 v67, v30 offset:4320
	v_fma_f16 v74, v74, v0, -v76
	v_mul_f16_e32 v0, v64, v75
	s_wait_dscnt 0xa
	v_mul_f16_e32 v75, v72, v87
	v_fmac_f16_e32 v86, v64, v1
	v_lshrrev_b32_e32 v64, 16, v3
	v_mul_f16_e32 v76, v61, v87
	v_fma_f16 v73, v73, v1, -v0
	v_fmac_f16_e32 v75, v61, v2
	ds_load_u16 v1, v30 offset:3120
	ds_load_u16 v61, v30 offset:3840
	;; [unrolled: 1-line block ×5, first 2 shown]
	v_mul_f16_e32 v90, v70, v64
	ds_load_u16 v91, v30 offset:5040
	s_wait_loadcnt 0x2
	v_lshrrev_b32_e32 v0, 16, v8
	v_fma_f16 v72, v72, v2, -v76
	v_mul_f16_e32 v2, v62, v64
	v_fmac_f16_e32 v90, v62, v3
	ds_load_u16 v62, v30 offset:5760
	s_wait_dscnt 0xd
	v_mul_f16_e32 v64, v80, v0
	v_lshrrev_b32_e32 v76, 16, v9
	v_fma_f16 v70, v70, v3, -v2
	v_mul_f16_e32 v0, v60, v0
	v_lshrrev_b32_e32 v2, 16, v10
	v_fmac_f16_e32 v64, v60, v8
	s_wait_dscnt 0x7
	v_mul_f16_e32 v60, v67, v76
	v_mul_f16_e32 v3, v58, v76
	v_fma_f16 v8, v80, v8, -v0
	v_and_b32_e32 v0, 0xffff, v69
	ds_load_u16 v76, v30 offset:5280
	ds_load_u16 v80, v30 offset:6000
	;; [unrolled: 1-line block ×5, first 2 shown]
	v_fmac_f16_e32 v60, v58, v9
	v_lshrrev_b32_e32 v58, 16, v11
	v_fma_f16 v67, v67, v9, -v3
	s_wait_dscnt 0x6
	v_mul_f16_e32 v95, v91, v2
	v_mul_f16_e32 v2, v65, v2
	ds_load_u16 v9, v30 offset:4560
	v_mul_f16_e32 v3, v59, v58
	global_load_b32 v66, v66, s[8:9] offset:32
	v_fmac_f16_e32 v95, v65, v10
	s_wait_dscnt 0x6
	v_mul_f16_e32 v65, v62, v58
	v_fma_f16 v58, v91, v10, -v2
	s_wait_loadcnt 0x2
	v_lshrrev_b32_e32 v2, 16, v4
	v_mul_u32_u24_e32 v10, 9, v0
	v_lshrrev_b32_e32 v91, 16, v6
	v_fmac_f16_e32 v65, v59, v11
	ds_load_u16 v59, v30
	v_fma_f16 v11, v62, v11, -v3
	v_lshrrev_b32_e32 v3, 16, v5
	v_mul_f16_e32 v62, v81, v2
	v_mul_f16_e32 v2, v54, v2
	v_lshlrev_b32_e32 v10, 2, v10
	v_mul_f16_e32 v96, v83, v91
	v_mul_f16_e32 v69, v82, v3
	v_fmac_f16_e32 v62, v54, v4
	v_fma_f16 v81, v81, v4, -v2
	v_lshrrev_b32_e32 v2, 16, v7
	v_mul_f16_e32 v3, v55, v3
	v_mul_f16_e32 v4, v51, v91
	v_fmac_f16_e32 v69, v55, v5
	v_fmac_f16_e32 v96, v51, v6
	v_mul_f16_e32 v55, v1, v2
	v_fma_f16 v82, v82, v5, -v3
	v_mul_f16_e32 v51, v56, v2
	v_fma_f16 v83, v83, v6, -v4
	s_clause 0x1
	global_load_b128 v[2:5], v10, s[8:9]
	global_load_b32 v54, v68, s[8:9] offset:32
	v_fmac_f16_e32 v55, v56, v7
	s_wait_loadcnt 0x3
	v_lshrrev_b32_e32 v6, 16, v13
	v_fma_f16 v68, v1, v7, -v51
	v_lshrrev_b32_e32 v1, 16, v12
	v_lshrrev_b32_e32 v7, 16, v14
	;; [unrolled: 1-line block ×3, first 2 shown]
	s_wait_dscnt 0x1
	v_mul_f16_e32 v97, v9, v6
	v_mul_f16_e32 v6, v49, v6
	;; [unrolled: 1-line block ×6, first 2 shown]
	v_fmac_f16_e32 v97, v49, v13
	v_fmac_f16_e32 v91, v52, v12
	v_fma_f16 v61, v61, v12, -v1
	v_mul_f16_e32 v1, v63, v7
	v_fmac_f16_e32 v98, v63, v14
	v_fmac_f16_e32 v99, v50, v15
	v_fma_f16 v100, v9, v13, -v6
	v_lshlrev_b32_e32 v0, 1, v0
	v_fma_f16 v63, v76, v14, -v1
	v_mul_f16_e32 v1, v50, v51
	s_clause 0x1
	global_load_b128 v[49:52], v10, s[8:9] offset:16
	global_load_b32 v7, v10, s[8:9] offset:32
	ds_load_u16 v13, v30 offset:6480
	v_fma_f16 v76, v80, v15, -v1
	s_wait_loadcnt 0x3
	v_lshrrev_b32_e32 v6, 16, v2
	v_lshrrev_b32_e32 v9, 16, v3
	;; [unrolled: 1-line block ×3, first 2 shown]
	s_delay_alu instid0(VALU_DEP_3) | instskip(SKIP_1) | instid1(VALU_DEP_4)
	v_mul_f16_e32 v1, v85, v6
	v_mul_f16_e32 v6, v47, v6
	v_mul_f16_e32 v80, v84, v9
	v_mul_f16_e32 v9, v45, v9
	v_mul_f16_e32 v12, v89, v10
	v_fmac_f16_e32 v1, v47, v2
	v_fma_f16 v2, v85, v2, -v6
	v_lshrrev_b32_e32 v6, 16, v5
	v_mul_f16_e32 v10, v48, v10
	v_fma_f16 v47, v84, v3, -v9
	v_fmac_f16_e32 v80, v45, v3
	v_fmac_f16_e32 v12, v48, v4
	v_mul_f16_e32 v84, v88, v6
	v_mul_f16_e32 v6, v46, v6
	v_lshrrev_b32_e32 v3, 16, v66
	v_fma_f16 v10, v89, v4, -v10
	ds_load_u16 v4, v30 offset:6720
	v_fmac_f16_e32 v84, v46, v5
	v_fma_f16 v46, v88, v5, -v6
	s_wait_loadcnt 0x1
	v_lshrrev_b32_e32 v5, 16, v49
	s_wait_dscnt 0x1
	v_mul_f16_e32 v15, v13, v3
	v_mul_f16_e32 v3, v41, v3
	v_lshrrev_b32_e32 v6, 16, v50
	v_lshrrev_b32_e32 v9, 16, v51
	v_mul_f16_e32 v14, v87, v5
	v_mul_f16_e32 v5, v43, v5
	v_fma_f16 v3, v13, v66, -v3
	v_mul_f16_e32 v48, v94, v6
	v_mul_f16_e32 v13, v57, v6
	v_fmac_f16_e32 v14, v43, v49
	v_fma_f16 v6, v87, v49, -v5
	v_lshrrev_b32_e32 v5, 16, v52
	v_mul_f16_e32 v45, v93, v9
	v_fmac_f16_e32 v48, v57, v50
	v_mul_f16_e32 v9, v44, v9
	v_fma_f16 v49, v94, v50, -v13
	v_lshrrev_b32_e32 v13, 16, v54
	v_mul_f16_e32 v50, v92, v5
	v_mul_f16_e32 v5, v42, v5
	v_fmac_f16_e32 v45, v44, v51
	v_fma_f16 v9, v93, v51, -v9
	s_wait_dscnt 0x0
	v_mul_f16_e32 v51, v4, v13
	v_mul_f16_e32 v13, v40, v13
	v_fma_f16 v57, v92, v52, -v5
	v_add_f16_e32 v5, v39, v86
	v_fmac_f16_e32 v15, v41, v66
	s_wait_loadcnt 0x0
	v_lshrrev_b32_e32 v41, 16, v7
	v_fmac_f16_e32 v50, v42, v52
	v_add_f16_e32 v42, v90, v60
	v_fma_f16 v66, v4, v54, -v13
	v_add_f16_e32 v4, v5, v90
	v_add_f16_e32 v5, v86, v65
	v_fmac_f16_e32 v51, v40, v54
	v_mul_f16_e32 v85, v78, v41
	v_fma_f16 v52, -0.5, v42, v39
	v_sub_f16_e32 v40, v73, v11
	v_mul_f16_e32 v13, v53, v41
	v_sub_f16_e32 v41, v86, v90
	v_fmac_f16_e32 v39, -0.5, v5
	v_sub_f16_e32 v5, v65, v60
	v_fmamk_f16 v54, v40, 0xbb9c, v52
	v_sub_f16_e32 v42, v70, v67
	v_add_f16_e32 v4, v4, v60
	v_fmac_f16_e32 v52, 0x3b9c, v40
	v_add_f16_e32 v5, v41, v5
	v_add_f16_e32 v41, v59, v73
	v_fmac_f16_e32 v85, v53, v7
	v_fma_f16 v13, v78, v7, -v13
	v_sub_f16_e32 v7, v90, v86
	v_sub_f16_e32 v43, v60, v65
	v_fmac_f16_e32 v54, 0xb8b4, v42
	v_fmamk_f16 v53, v42, 0x3b9c, v39
	v_fmac_f16_e32 v52, 0x38b4, v42
	v_fmac_f16_e32 v39, 0xbb9c, v42
	v_add_f16_e32 v42, v70, v67
	v_add_f16_e32 v56, v4, v65
	;; [unrolled: 1-line block ×4, first 2 shown]
	v_fmac_f16_e32 v54, 0x34f2, v5
	v_fmac_f16_e32 v53, 0xb8b4, v40
	v_fma_f16 v78, -0.5, v42, v59
	v_sub_f16_e32 v41, v86, v65
	v_fmac_f16_e32 v52, 0x34f2, v5
	v_fmac_f16_e32 v39, 0x38b4, v40
	v_add_f16_e32 v4, v4, v67
	v_add_f16_e32 v5, v73, v11
	v_fmac_f16_e32 v53, 0x34f2, v7
	v_fmamk_f16 v65, v41, 0x3b9c, v78
	v_sub_f16_e32 v40, v90, v60
	v_sub_f16_e32 v42, v73, v70
	;; [unrolled: 1-line block ×3, first 2 shown]
	v_fmac_f16_e32 v39, 0x34f2, v7
	v_fmac_f16_e32 v59, -0.5, v5
	v_add_f16_e32 v60, v4, v11
	v_fmac_f16_e32 v78, 0xbb9c, v41
	v_sub_f16_e32 v5, v70, v73
	v_sub_f16_e32 v7, v67, v11
	v_add_f16_e32 v11, v79, v75
	v_fmac_f16_e32 v65, 0x38b4, v40
	v_add_f16_e32 v4, v42, v43
	v_fmamk_f16 v86, v40, 0xbb9c, v59
	v_fmac_f16_e32 v78, 0xb8b4, v40
	v_add_f16_e32 v5, v5, v7
	v_fmac_f16_e32 v59, 0x3b9c, v40
	v_add_f16_e32 v7, v11, v64
	v_add_f16_e32 v11, v64, v95
	v_fmac_f16_e32 v65, 0x34f2, v4
	v_fmac_f16_e32 v86, 0x38b4, v41
	;; [unrolled: 1-line block ×4, first 2 shown]
	v_add_f16_e32 v4, v7, v95
	v_add_f16_e32 v7, v75, v15
	v_fma_f16 v11, -0.5, v11, v79
	v_sub_f16_e32 v40, v72, v3
	v_fmac_f16_e32 v86, 0x34f2, v5
	v_fmac_f16_e32 v59, 0x34f2, v5
	v_sub_f16_e32 v5, v8, v58
	v_fmac_f16_e32 v79, -0.5, v7
	v_sub_f16_e32 v7, v75, v64
	v_sub_f16_e32 v41, v15, v95
	v_fmamk_f16 v44, v40, 0xbb9c, v11
	v_fmac_f16_e32 v11, 0x3b9c, v40
	v_fmamk_f16 v67, v5, 0x3b9c, v79
	v_sub_f16_e32 v42, v64, v75
	v_add_f16_e32 v7, v7, v41
	v_fmac_f16_e32 v44, 0xb8b4, v5
	v_fmac_f16_e32 v11, 0x38b4, v5
	v_sub_f16_e32 v41, v95, v15
	v_fmac_f16_e32 v79, 0xbb9c, v5
	v_add_f16_e32 v5, v8, v58
	v_fmac_f16_e32 v44, 0x34f2, v7
	v_fmac_f16_e32 v11, 0x34f2, v7
	v_add_f16_e32 v7, v72, v3
	v_add_f16_e32 v70, v4, v15
	v_fmac_f16_e32 v67, 0xb8b4, v40
	v_add_f16_e32 v4, v42, v41
	v_fmac_f16_e32 v79, 0x38b4, v40
	v_fma_f16 v5, -0.5, v5, v74
	v_sub_f16_e32 v15, v75, v15
	v_add_f16_e32 v40, v74, v72
	v_sub_f16_e32 v41, v64, v95
	v_fmac_f16_e32 v74, -0.5, v7
	v_fmac_f16_e32 v67, 0x34f2, v4
	v_fmac_f16_e32 v79, 0x34f2, v4
	v_fmamk_f16 v4, v15, 0x3b9c, v5
	v_sub_f16_e32 v7, v72, v8
	v_sub_f16_e32 v42, v3, v58
	v_fmamk_f16 v64, v41, 0xbb9c, v74
	v_sub_f16_e32 v43, v8, v72
	v_sub_f16_e32 v72, v58, v3
	v_fmac_f16_e32 v5, 0xbb9c, v15
	v_fmac_f16_e32 v74, 0x3b9c, v41
	v_add_f16_e32 v7, v7, v42
	v_fmac_f16_e32 v4, 0x38b4, v41
	v_fmac_f16_e32 v64, 0x38b4, v15
	v_add_f16_e32 v42, v43, v72
	;; [unrolled: 3-line block ×3, first 2 shown]
	v_fmac_f16_e32 v4, 0x34f2, v7
	v_fmac_f16_e32 v64, 0x34f2, v42
	;; [unrolled: 1-line block ×4, first 2 shown]
	v_add_f16_e32 v8, v8, v58
	v_mul_f16_e32 v15, 0xb8b4, v4
	v_mul_f16_e32 v58, 0xbb9c, v64
	;; [unrolled: 1-line block ×6, first 2 shown]
	v_add_f16_e32 v73, v8, v3
	v_fmac_f16_e32 v15, 0x3a79, v44
	v_fmac_f16_e32 v58, 0x34f2, v67
	;; [unrolled: 1-line block ×3, first 2 shown]
	v_mul_f16_e32 v64, 0x34f2, v64
	v_mul_f16_e32 v74, 0xb4f2, v74
	v_fmac_f16_e32 v87, 0x38b4, v44
	v_fmac_f16_e32 v88, 0x38b4, v11
	v_add_f16_e32 v11, v55, v97
	v_fmac_f16_e32 v72, 0xb4f2, v79
	v_add_f16_e32 v40, v56, v70
	v_add_f16_e32 v41, v54, v15
	;; [unrolled: 1-line block ×3, first 2 shown]
	v_fmac_f16_e32 v64, 0x3b9c, v67
	v_fmac_f16_e32 v74, 0x3b9c, v79
	v_add_f16_e32 v3, v60, v73
	v_add_f16_e32 v4, v65, v87
	v_sub_f16_e32 v70, v56, v70
	v_sub_f16_e32 v79, v54, v15
	;; [unrolled: 1-line block ×3, first 2 shown]
	v_add_f16_e32 v54, v38, v69
	v_fma_f16 v67, -0.5, v11, v38
	v_sub_f16_e32 v58, v82, v76
	v_sub_f16_e32 v11, v60, v73
	v_sub_f16_e32 v15, v65, v87
	v_sub_f16_e32 v56, v69, v55
	v_sub_f16_e32 v60, v99, v97
	v_add_f16_e32 v65, v69, v99
	v_add_f16_e32 v43, v39, v72
	;; [unrolled: 1-line block ×5, first 2 shown]
	v_sub_f16_e32 v39, v39, v72
	v_sub_f16_e32 v72, v52, v75
	;; [unrolled: 1-line block ×3, first 2 shown]
	v_add_f16_e32 v64, v54, v55
	v_sub_f16_e32 v54, v59, v74
	v_fmamk_f16 v73, v58, 0xbb9c, v67
	v_add_f16_e32 v59, v56, v60
	v_sub_f16_e32 v60, v68, v100
	v_fmac_f16_e32 v38, -0.5, v65
	v_sub_f16_e32 v65, v55, v69
	v_sub_f16_e32 v74, v97, v99
	v_fmac_f16_e32 v67, 0x3b9c, v58
	v_fmac_f16_e32 v73, 0xb8b4, v60
	v_add_f16_e32 v75, v68, v100
	v_sub_f16_e32 v69, v69, v99
	v_add_f16_e32 v65, v65, v74
	v_fmamk_f16 v74, v60, 0x3b9c, v38
	v_fmac_f16_e32 v67, 0x38b4, v60
	v_fmac_f16_e32 v38, 0xbb9c, v60
	v_add_f16_e32 v60, v71, v82
	v_fmac_f16_e32 v73, 0x34f2, v59
	v_fmac_f16_e32 v74, 0xb8b4, v58
	v_fma_f16 v75, -0.5, v75, v71
	v_fmac_f16_e32 v67, 0x34f2, v59
	v_add_f16_e32 v60, v60, v68
	v_fmac_f16_e32 v38, 0x38b4, v58
	v_add_f16_e32 v59, v82, v76
	v_sub_f16_e32 v86, v76, v100
	v_add_f16_e32 v8, v78, v88
	v_add_f16_e32 v58, v60, v100
	v_sub_f16_e32 v60, v82, v68
	v_sub_f16_e32 v56, v78, v88
	v_fmac_f16_e32 v74, 0x34f2, v65
	v_fmamk_f16 v78, v69, 0x3b9c, v75
	v_sub_f16_e32 v55, v55, v97
	v_fmac_f16_e32 v38, 0x34f2, v65
	v_fmac_f16_e32 v71, -0.5, v59
	v_add_f16_e32 v65, v58, v76
	v_add_f16_e32 v58, v60, v86
	v_fmac_f16_e32 v75, 0xbb9c, v69
	v_sub_f16_e32 v59, v68, v82
	v_sub_f16_e32 v60, v100, v76
	v_fmac_f16_e32 v78, 0x38b4, v55
	v_fmamk_f16 v86, v55, 0xbb9c, v71
	v_add_f16_e32 v68, v62, v96
	v_fmac_f16_e32 v75, 0xb8b4, v55
	v_add_f16_e32 v59, v59, v60
	v_fmac_f16_e32 v71, 0x3b9c, v55
	;; [unrolled: 2-line block ×3, first 2 shown]
	v_fmac_f16_e32 v86, 0x38b4, v69
	v_add_f16_e32 v55, v68, v91
	v_fmac_f16_e32 v75, 0x34f2, v58
	v_fmac_f16_e32 v71, 0xb8b4, v69
	v_fma_f16 v58, -0.5, v60, v62
	v_add_f16_e32 v60, v96, v51
	v_sub_f16_e32 v68, v83, v66
	v_fmac_f16_e32 v86, 0x34f2, v59
	v_fmac_f16_e32 v71, 0x34f2, v59
	v_sub_f16_e32 v59, v96, v91
	v_sub_f16_e32 v69, v51, v98
	v_fmac_f16_e32 v62, -0.5, v60
	v_sub_f16_e32 v76, v61, v63
	v_fmamk_f16 v87, v68, 0xbb9c, v58
	v_fmac_f16_e32 v58, 0x3b9c, v68
	v_add_f16_e32 v55, v55, v98
	v_sub_f16_e32 v60, v91, v96
	v_sub_f16_e32 v82, v98, v51
	v_add_f16_e32 v59, v59, v69
	v_fmamk_f16 v69, v76, 0x3b9c, v62
	v_fmac_f16_e32 v87, 0xb8b4, v76
	v_fmac_f16_e32 v58, 0x38b4, v76
	;; [unrolled: 1-line block ×3, first 2 shown]
	v_add_f16_e32 v76, v61, v63
	v_add_f16_e32 v60, v60, v82
	;; [unrolled: 1-line block ×3, first 2 shown]
	v_fmac_f16_e32 v69, 0xb8b4, v68
	v_fmac_f16_e32 v87, 0x34f2, v59
	v_fmac_f16_e32 v58, 0x34f2, v59
	v_fmac_f16_e32 v62, 0x38b4, v68
	v_add_f16_e32 v59, v83, v66
	v_fma_f16 v68, -0.5, v76, v81
	v_sub_f16_e32 v51, v96, v51
	v_fmac_f16_e32 v69, 0x34f2, v60
	v_add_f16_e32 v76, v81, v83
	v_sub_f16_e32 v82, v91, v98
	v_fmac_f16_e32 v81, -0.5, v59
	v_sub_f16_e32 v59, v83, v61
	v_sub_f16_e32 v88, v66, v63
	v_fmac_f16_e32 v62, 0x34f2, v60
	v_fmamk_f16 v60, v51, 0x3b9c, v68
	v_fmamk_f16 v89, v82, 0xbb9c, v81
	v_sub_f16_e32 v83, v61, v83
	v_sub_f16_e32 v90, v63, v66
	v_fmac_f16_e32 v81, 0x3b9c, v82
	v_add_f16_e32 v59, v59, v88
	v_fmac_f16_e32 v60, 0x38b4, v82
	v_fmac_f16_e32 v68, 0xbb9c, v51
	;; [unrolled: 1-line block ×3, first 2 shown]
	v_add_f16_e32 v83, v83, v90
	v_fmac_f16_e32 v81, 0xb8b4, v51
	v_add_f16_e32 v51, v76, v61
	v_fmac_f16_e32 v60, 0x34f2, v59
	v_fmac_f16_e32 v68, 0xb8b4, v82
	;; [unrolled: 1-line block ×4, first 2 shown]
	v_add_f16_e32 v51, v51, v63
	v_mul_f16_e32 v63, 0xb8b4, v60
	v_fmac_f16_e32 v68, 0x34f2, v59
	v_mul_f16_e32 v76, 0xbb9c, v89
	v_mul_f16_e32 v89, 0x34f2, v89
	v_add_f16_e32 v51, v51, v66
	v_fmac_f16_e32 v63, 0x3a79, v87
	v_mul_f16_e32 v66, 0xb8b4, v68
	v_add_f16_e32 v64, v64, v97
	v_mul_f16_e32 v82, 0xbb9c, v81
	v_fmac_f16_e32 v76, 0x34f2, v69
	v_add_f16_e32 v88, v73, v63
	v_mul_f16_e32 v92, 0x3a79, v60
	v_fmac_f16_e32 v66, 0xba79, v58
	v_mul_f16_e32 v68, 0xba79, v68
	v_fmac_f16_e32 v89, 0x3b9c, v69
	v_sub_f16_e32 v69, v73, v63
	v_add_f16_e32 v63, v84, v48
	v_add_f16_e32 v64, v64, v99
	v_fmac_f16_e32 v82, 0xb4f2, v62
	v_add_f16_e32 v90, v74, v76
	v_mul_f16_e32 v81, 0xb4f2, v81
	v_fmac_f16_e32 v92, 0x38b4, v87
	v_add_f16_e32 v87, v67, v66
	v_fmac_f16_e32 v68, 0x38b4, v58
	v_add_f16_e32 v58, v65, v51
	v_add_f16_e32 v60, v86, v89
	v_sub_f16_e32 v73, v74, v76
	v_sub_f16_e32 v74, v67, v66
	v_add_f16_e32 v67, v32, v80
	v_fma_f16 v76, -0.5, v63, v32
	v_sub_f16_e32 v63, v65, v51
	v_sub_f16_e32 v65, v86, v89
	v_add_f16_e32 v86, v80, v50
	v_add_f16_e32 v83, v64, v55
	;; [unrolled: 1-line block ×3, first 2 shown]
	v_fmac_f16_e32 v81, 0x3b9c, v62
	v_add_f16_e32 v59, v78, v92
	v_sub_f16_e32 v55, v64, v55
	v_sub_f16_e32 v38, v38, v82
	;; [unrolled: 1-line block ×6, first 2 shown]
	v_fmac_f16_e32 v32, -0.5, v86
	v_add_f16_e32 v86, v67, v84
	v_add_f16_e32 v61, v71, v81
	;; [unrolled: 1-line block ×3, first 2 shown]
	v_sub_f16_e32 v66, v71, v81
	v_fmamk_f16 v71, v82, 0xbb9c, v76
	v_add_f16_e32 v51, v51, v78
	v_sub_f16_e32 v78, v46, v49
	v_sub_f16_e32 v67, v75, v68
	v_fmac_f16_e32 v76, 0x3b9c, v82
	v_add_f16_e32 v68, v86, v48
	v_sub_f16_e32 v81, v84, v80
	v_sub_f16_e32 v89, v48, v50
	v_fmac_f16_e32 v71, 0xb8b4, v78
	v_fmac_f16_e32 v76, 0x38b4, v78
	v_add_f16_e32 v68, v68, v50
	v_add_f16_e32 v86, v46, v49
	v_sub_f16_e32 v50, v80, v50
	v_add_f16_e32 v80, v47, v57
	v_add_f16_e32 v75, v81, v89
	v_fmamk_f16 v81, v78, 0x3b9c, v32
	v_fmac_f16_e32 v32, 0xbb9c, v78
	v_add_f16_e32 v78, v77, v47
	v_fmac_f16_e32 v71, 0x34f2, v51
	v_fmac_f16_e32 v76, 0x34f2, v51
	v_fma_f16 v51, -0.5, v86, v77
	v_sub_f16_e32 v48, v84, v48
	v_fmac_f16_e32 v77, -0.5, v80
	v_fmac_f16_e32 v81, 0xb8b4, v82
	v_add_f16_e32 v78, v78, v46
	v_fmac_f16_e32 v32, 0x38b4, v82
	v_fmamk_f16 v82, v50, 0x3b9c, v51
	v_sub_f16_e32 v84, v47, v46
	v_fmac_f16_e32 v51, 0xbb9c, v50
	v_fmamk_f16 v80, v48, 0xbb9c, v77
	v_sub_f16_e32 v46, v46, v47
	v_sub_f16_e32 v47, v49, v57
	v_fmac_f16_e32 v77, 0x3b9c, v48
	v_add_f16_e32 v78, v78, v49
	v_sub_f16_e32 v86, v57, v49
	v_fmac_f16_e32 v82, 0x38b4, v48
	v_fmac_f16_e32 v51, 0xb8b4, v48
	;; [unrolled: 1-line block ×3, first 2 shown]
	v_add_f16_e32 v46, v46, v47
	v_add_f16_e32 v47, v14, v45
	v_fmac_f16_e32 v77, 0xb8b4, v50
	v_add_f16_e32 v48, v12, v85
	v_fmac_f16_e32 v81, 0x34f2, v75
	v_fmac_f16_e32 v32, 0x34f2, v75
	v_add_f16_e32 v75, v78, v57
	v_add_f16_e32 v78, v84, v86
	;; [unrolled: 1-line block ×3, first 2 shown]
	v_fmac_f16_e32 v80, 0x34f2, v46
	v_fma_f16 v47, -0.5, v47, v1
	v_fmac_f16_e32 v77, 0x34f2, v46
	v_sub_f16_e32 v46, v12, v14
	v_sub_f16_e32 v50, v85, v45
	v_fmac_f16_e32 v1, -0.5, v48
	v_sub_f16_e32 v48, v10, v13
	v_fmac_f16_e32 v82, 0x34f2, v78
	v_fmac_f16_e32 v51, 0x34f2, v78
	v_sub_f16_e32 v57, v14, v12
	v_sub_f16_e32 v78, v45, v85
	v_add_f16_e32 v46, v46, v50
	v_sub_f16_e32 v50, v6, v9
	v_fmamk_f16 v84, v48, 0xbb9c, v47
	v_fmac_f16_e32 v47, 0x3b9c, v48
	v_add_f16_e32 v57, v57, v78
	v_add_f16_e32 v49, v49, v14
	v_fmamk_f16 v78, v50, 0x3b9c, v1
	v_fmac_f16_e32 v84, 0xb8b4, v50
	v_fmac_f16_e32 v47, 0x38b4, v50
	;; [unrolled: 1-line block ×3, first 2 shown]
	v_add_f16_e32 v49, v49, v45
	v_fmac_f16_e32 v78, 0xb8b4, v48
	v_fmac_f16_e32 v84, 0x34f2, v46
	;; [unrolled: 1-line block ×3, first 2 shown]
	v_add_f16_e32 v46, v6, v9
	v_fmac_f16_e32 v1, 0x38b4, v48
	v_add_f16_e32 v48, v10, v13
	v_sub_f16_e32 v12, v12, v85
	v_add_f16_e32 v50, v2, v10
	v_fma_f16 v46, -0.5, v46, v2
	v_sub_f16_e32 v14, v14, v45
	v_fmac_f16_e32 v2, -0.5, v48
	v_add_f16_e32 v49, v49, v85
	v_fmac_f16_e32 v78, 0x34f2, v57
	v_fmac_f16_e32 v1, 0x34f2, v57
	v_sub_f16_e32 v45, v10, v6
	v_sub_f16_e32 v48, v13, v9
	;; [unrolled: 1-line block ×4, first 2 shown]
	v_fmamk_f16 v85, v12, 0x3b9c, v46
	v_fmamk_f16 v86, v14, 0xbb9c, v2
	v_fmac_f16_e32 v2, 0x3b9c, v14
	v_add_f16_e32 v45, v45, v48
	v_add_f16_e32 v10, v10, v57
	v_fmac_f16_e32 v85, 0x38b4, v14
	v_add_f16_e32 v6, v50, v6
	v_fmac_f16_e32 v2, 0xb8b4, v12
	v_fmac_f16_e32 v86, 0x38b4, v12
	;; [unrolled: 1-line block ×4, first 2 shown]
	v_add_f16_e32 v6, v6, v9
	v_fmac_f16_e32 v2, 0x34f2, v10
	v_fmac_f16_e32 v86, 0x34f2, v10
	;; [unrolled: 1-line block ×3, first 2 shown]
	v_mul_f16_e32 v9, 0xb8b4, v85
	v_add_f16_e32 v6, v6, v13
	v_mul_f16_e32 v12, 0xbb9c, v2
	v_mul_f16_e32 v2, 0xb4f2, v2
	v_fmac_f16_e32 v46, 0x34f2, v45
	v_fmac_f16_e32 v9, 0x3a79, v84
	v_mul_f16_e32 v50, 0x3a79, v85
	v_fmac_f16_e32 v12, 0xb4f2, v1
	v_fmac_f16_e32 v2, 0x3b9c, v1
	v_add_f16_e32 v85, v75, v6
	v_add_f16_e32 v45, v71, v9
	v_sub_f16_e32 v9, v71, v9
	v_sub_f16_e32 v75, v75, v6
	v_add_f16_e32 v71, v77, v2
	v_and_b32_e32 v6, 0xffff, v34
	v_sub_f16_e32 v77, v77, v2
	v_and_b32_e32 v2, 0xffff, v36
	v_mul_f16_e32 v10, 0xbb9c, v86
	v_mul_f16_e32 v13, 0xb8b4, v46
	v_fmac_f16_e32 v50, 0x38b4, v84
	v_add_f16_e32 v84, v32, v12
	v_sub_f16_e32 v12, v32, v12
	v_mul_u32_u24_e32 v6, 0xc8, v6
	v_lshlrev_b32_e32 v32, 1, v33
	v_mul_u32_u24_e32 v2, 0xc8, v2
	v_lshlrev_b32_e32 v33, 1, v35
	v_fmac_f16_e32 v10, 0x34f2, v78
	v_fmac_f16_e32 v13, 0xba79, v47
	v_mul_f16_e32 v57, 0x34f2, v86
	v_add3_u32 v89, 0, v6, v32
	v_add3_u32 v92, 0, v2, v33
	v_mul_u32_u24_e32 v2, 0xc8, v37
	v_sub_f16_e32 v1, v68, v49
	v_add_f16_e32 v14, v68, v49
	v_add_f16_e32 v48, v81, v10
	v_mul_f16_e32 v46, 0xba79, v46
	v_fmac_f16_e32 v57, 0x3b9c, v78
	v_add_f16_e32 v78, v76, v13
	v_sub_f16_e32 v10, v81, v10
	v_sub_f16_e32 v13, v76, v13
	global_wb scope:SCOPE_SE
	s_barrier_signal -1
	s_barrier_wait -1
	global_inv scope:SCOPE_SE
	ds_store_b16 v89, v40
	ds_store_b16 v89, v41 offset:20
	ds_store_b16 v89, v42 offset:40
	;; [unrolled: 1-line block ×9, first 2 shown]
	v_add3_u32 v70, 0, v2, v0
	ds_store_b16 v92, v83
	ds_store_b16 v92, v88 offset:20
	ds_store_b16 v92, v90 offset:40
	;; [unrolled: 1-line block ×9, first 2 shown]
	ds_store_b16 v70, v14
	ds_store_b16 v70, v45 offset:20
	ds_store_b16 v70, v48 offset:40
	;; [unrolled: 1-line block ×9, first 2 shown]
	v_add_nc_u32_e32 v1, 0xffffff9c, v24
	v_fmac_f16_e32 v46, 0x38b4, v47
	v_add_f16_e32 v86, v82, v50
	v_add_f16_e32 v68, v80, v57
	v_sub_f16_e32 v76, v82, v50
	s_wait_alu 0xf1ff
	v_cndmask_b32_e64 v1, v1, v24, s0
	v_add_f16_e32 v81, v51, v46
	v_sub_f16_e32 v80, v80, v57
	v_sub_f16_e32 v82, v51, v46
	global_wb scope:SCOPE_SE
	s_wait_dscnt 0x0
	s_barrier_signal -1
	s_barrier_wait -1
	global_inv scope:SCOPE_SE
	ds_load_u16 v12, v30 offset:6480
	ds_load_u16 v10, v30
	ds_load_u16 v53, v30 offset:1200
	ds_load_u16 v48, v30 offset:1440
	;; [unrolled: 1-line block ×6, first 2 shown]
	v_lshl_add_u32 v32, v16, 1, 0
	ds_load_u16 v51, v30 offset:4800
	ds_load_u16 v47, v30 offset:5040
	;; [unrolled: 1-line block ×17, first 2 shown]
	ds_load_u16 v6, v18
	ds_load_u16 v9, v17
	;; [unrolled: 1-line block ×4, first 2 shown]
	ds_load_u16 v14, v30 offset:6960
	global_wb scope:SCOPE_SE
	s_wait_dscnt 0x0
	s_barrier_signal -1
	s_barrier_wait -1
	global_inv scope:SCOPE_SE
	ds_store_b16 v89, v3
	ds_store_b16 v89, v4 offset:20
	ds_store_b16 v89, v5 offset:40
	;; [unrolled: 1-line block ×9, first 2 shown]
	v_mul_i32_i24_e32 v4, 5, v1
	v_mov_b32_e32 v5, 0
	ds_store_b16 v92, v58
	ds_store_b16 v92, v59 offset:20
	ds_store_b16 v92, v60 offset:40
	;; [unrolled: 1-line block ×9, first 2 shown]
	ds_store_b16 v70, v85
	ds_store_b16 v70, v86 offset:20
	ds_store_b16 v70, v68 offset:40
	;; [unrolled: 1-line block ×9, first 2 shown]
	global_wb scope:SCOPE_SE
	s_wait_dscnt 0x0
	s_barrier_signal -1
	v_lshlrev_b64_e32 v[3:4], 2, v[4:5]
	s_barrier_wait -1
	global_inv scope:SCOPE_SE
	v_lshrrev_b16 v8, 2, v27
	ds_load_u16 v56, v30 offset:1200
	ds_load_u16 v60, v30 offset:2400
	v_add_co_u32 v58, s0, s8, v3
	v_mul_lo_u16 v3, v19, 41
	s_wait_alu 0xf1ff
	v_add_co_ci_u32_e64 v59, s0, s9, v4, s0
	v_cmp_lt_u32_e64 s0, 0x63, v24
	v_lshlrev_b32_e32 v1, 1, v1
	v_lshrrev_b16 v3, 12, v3
	s_clause 0x1
	global_load_b128 v[62:65], v[58:59], off offset:360
	global_load_b32 v86, v[58:59], off offset:376
	v_mul_lo_u16 v4, 0x64, v3
	v_and_b32_e32 v3, 0xffff, v3
	s_delay_alu instid0(VALU_DEP_2) | instskip(NEXT) | instid1(VALU_DEP_2)
	v_sub_nc_u16 v4, v26, v4
	v_mul_u32_u24_e32 v3, 0x4b0, v3
	s_delay_alu instid0(VALU_DEP_2) | instskip(NEXT) | instid1(VALU_DEP_1)
	v_and_b32_e32 v4, 0xff, v4
	v_mul_u32_u24_e32 v7, 5, v4
	v_lshlrev_b32_e32 v4, 1, v4
	s_delay_alu instid0(VALU_DEP_2) | instskip(SKIP_1) | instid1(VALU_DEP_3)
	v_lshlrev_b32_e32 v19, 2, v7
	v_and_b32_e32 v7, 0xffff, v8
	v_add3_u32 v3, 0, v3, v4
	global_load_b128 v[74:77], v19, s[8:9] offset:360
	v_mul_u32_u24_e32 v7, 0x147b, v7
	s_delay_alu instid0(VALU_DEP_1) | instskip(NEXT) | instid1(VALU_DEP_1)
	v_lshrrev_b32_e32 v7, 17, v7
	v_mul_lo_u16 v8, 0x64, v7
	v_mul_u32_u24_e32 v4, 0x4b0, v7
	s_delay_alu instid0(VALU_DEP_2) | instskip(NEXT) | instid1(VALU_DEP_1)
	v_sub_nc_u16 v8, v27, v8
	v_and_b32_e32 v8, 0xffff, v8
	s_delay_alu instid0(VALU_DEP_1) | instskip(SKIP_1) | instid1(VALU_DEP_2)
	v_mul_u32_u24_e32 v11, 5, v8
	v_lshlrev_b32_e32 v7, 1, v8
	v_lshlrev_b32_e32 v54, 2, v11
	v_lshrrev_b16 v11, 2, v25
	s_delay_alu instid0(VALU_DEP_3)
	v_add3_u32 v4, 0, v4, v7
	global_load_b128 v[78:81], v54, s[8:9] offset:360
	ds_load_u16 v58, v30 offset:3600
	ds_load_u16 v68, v30 offset:2640
	;; [unrolled: 1-line block ×6, first 2 shown]
	ds_load_u16 v52, v30
	global_load_b32 v90, v19, s[8:9] offset:376
	ds_load_u16 v19, v30 offset:4800
	v_and_b32_e32 v11, 0xffff, v11
	s_delay_alu instid0(VALU_DEP_1) | instskip(NEXT) | instid1(VALU_DEP_1)
	v_mul_u32_u24_e32 v11, 0x147b, v11
	v_lshrrev_b32_e32 v11, 17, v11
	s_delay_alu instid0(VALU_DEP_1) | instskip(SKIP_1) | instid1(VALU_DEP_2)
	v_mul_lo_u16 v15, 0x64, v11
	v_mul_u32_u24_e32 v7, 0x4b0, v11
	v_sub_nc_u16 v15, v25, v15
	s_delay_alu instid0(VALU_DEP_1) | instskip(NEXT) | instid1(VALU_DEP_1)
	v_and_b32_e32 v15, 0xffff, v15
	v_mul_u32_u24_e32 v61, 5, v15
	v_lshlrev_b32_e32 v8, 1, v15
	s_delay_alu instid0(VALU_DEP_2) | instskip(NEXT) | instid1(VALU_DEP_2)
	v_lshlrev_b32_e32 v102, 2, v61
	v_add3_u32 v7, 0, v7, v8
	s_wait_loadcnt 0x4
	v_lshrrev_b32_e32 v66, 16, v62
	v_lshrrev_b32_e32 v67, 16, v63
	s_wait_dscnt 0x9
	s_delay_alu instid0(VALU_DEP_2) | instskip(SKIP_3) | instid1(VALU_DEP_3)
	v_mul_f16_e32 v59, v56, v66
	v_mul_f16_e32 v66, v53, v66
	s_wait_dscnt 0x8
	v_mul_f16_e32 v71, v60, v67
	v_fmac_f16_e32 v59, v53, v62
	v_lshrrev_b32_e32 v53, 16, v64
	v_fma_f16 v62, v56, v62, -v66
	v_mul_f16_e32 v56, v55, v67
	v_fmac_f16_e32 v71, v55, v63
	v_lshrrev_b32_e32 v55, 16, v65
	s_wait_dscnt 0x7
	v_mul_f16_e32 v70, v58, v53
	v_mul_f16_e32 v53, v57, v53
	ds_load_u16 v66, v30 offset:3840
	ds_load_u16 v91, v30 offset:4080
	;; [unrolled: 1-line block ×5, first 2 shown]
	v_fma_f16 v95, v60, v63, -v56
	s_wait_dscnt 0x5
	v_mul_f16_e32 v101, v19, v55
	v_fmac_f16_e32 v70, v57, v64
	v_mul_f16_e32 v55, v51, v55
	v_fma_f16 v73, v58, v64, -v53
	ds_load_u16 v56, v30 offset:5040
	ds_load_u16 v64, v30 offset:5280
	;; [unrolled: 1-line block ×7, first 2 shown]
	v_fmac_f16_e32 v101, v51, v65
	s_clause 0x1
	global_load_b128 v[82:85], v102, s[8:9] offset:360
	global_load_b32 v104, v54, s[8:9] offset:376
	v_fma_f16 v103, v19, v65, -v55
	s_wait_loadcnt 0x4
	v_lshrrev_b32_e32 v57, 16, v74
	v_lshrrev_b32_e32 v19, 16, v75
	v_lshrrev_b16 v55, 2, v16
	s_delay_alu instid0(VALU_DEP_3) | instskip(SKIP_1) | instid1(VALU_DEP_4)
	v_mul_f16_e32 v53, v69, v57
	v_mul_f16_e32 v51, v48, v57
	;; [unrolled: 1-line block ×4, first 2 shown]
	s_delay_alu instid0(VALU_DEP_4)
	v_fmac_f16_e32 v53, v48, v74
	v_lshrrev_b32_e32 v48, 16, v76
	v_fma_f16 v57, v69, v74, -v51
	v_lshrrev_b32_e32 v51, 16, v77
	v_fma_f16 v69, v68, v75, -v19
	v_fmac_f16_e32 v67, v49, v75
	s_wait_dscnt 0xb
	v_mul_f16_e32 v65, v66, v48
	v_mul_f16_e32 v48, v50, v48
	s_wait_dscnt 0x6
	v_mul_f16_e32 v68, v56, v51
	v_mul_f16_e32 v19, v47, v51
	ds_load_u16 v51, v30 offset:3120
	v_fmac_f16_e32 v65, v50, v76
	v_fma_f16 v66, v66, v76, -v48
	v_fmac_f16_e32 v68, v47, v77
	ds_load_u16 v48, v30 offset:2880
	v_and_b32_e32 v47, 0xffff, v55
	v_fma_f16 v72, v56, v77, -v19
	s_delay_alu instid0(VALU_DEP_2) | instskip(NEXT) | instid1(VALU_DEP_1)
	v_mul_u32_u24_e32 v47, 0x147b, v47
	v_lshrrev_b32_e32 v19, 17, v47
	s_wait_loadcnt 0x3
	v_lshrrev_b32_e32 v49, 16, v78
	v_lshrrev_b32_e32 v50, 16, v79
	s_delay_alu instid0(VALU_DEP_3) | instskip(NEXT) | instid1(VALU_DEP_3)
	v_mul_lo_u16 v54, 0x64, v19
	v_mul_f16_e32 v47, v87, v49
	v_mul_f16_e32 v49, v45, v49
	v_mul_u32_u24_e32 v8, 0x4b0, v19
	s_wait_dscnt 0x0
	v_mul_f16_e32 v58, v48, v50
	v_sub_nc_u16 v54, v16, v54
	v_fmac_f16_e32 v47, v45, v78
	v_lshrrev_b32_e32 v45, 16, v80
	v_mul_f16_e32 v50, v33, v50
	v_fmac_f16_e32 v58, v33, v79
	v_and_b32_e32 v33, 0xffff, v54
	v_fma_f16 v49, v87, v78, -v49
	v_mul_f16_e32 v56, v91, v45
	v_mul_f16_e32 v45, v46, v45
	v_fma_f16 v61, v48, v79, -v50
	v_lshrrev_b32_e32 v48, 16, v81
	s_delay_alu instid0(VALU_DEP_4) | instskip(SKIP_2) | instid1(VALU_DEP_4)
	v_fmac_f16_e32 v56, v46, v80
	v_mul_u32_u24_e32 v46, 5, v33
	v_fma_f16 v60, v91, v80, -v45
	v_mul_f16_e32 v45, v44, v48
	v_mul_f16_e32 v63, v64, v48
	s_delay_alu instid0(VALU_DEP_4)
	v_lshlrev_b32_e32 v46, 2, v46
	s_clause 0x2
	global_load_b128 v[74:77], v46, s[8:9] offset:360
	global_load_b32 v78, v102, s[8:9] offset:376
	global_load_b32 v79, v46, s[8:9] offset:376
	v_fma_f16 v64, v64, v81, -v45
	v_fmac_f16_e32 v63, v44, v81
	s_wait_loadcnt 0x4
	v_lshrrev_b32_e32 v45, 16, v82
	s_delay_alu instid0(VALU_DEP_1) | instskip(SKIP_1) | instid1(VALU_DEP_2)
	v_mul_f16_e32 v44, v88, v45
	v_mul_f16_e32 v45, v42, v45
	v_fmac_f16_e32 v44, v42, v82
	v_lshrrev_b32_e32 v42, 16, v83
	s_delay_alu instid0(VALU_DEP_3) | instskip(SKIP_2) | instid1(VALU_DEP_3)
	v_fma_f16 v45, v88, v82, -v45
	s_wait_loadcnt 0x3
	v_lshrrev_b32_e32 v82, 16, v104
	v_mul_f16_e32 v50, v51, v42
	v_mul_f16_e32 v42, v41, v42
	s_delay_alu instid0(VALU_DEP_2) | instskip(SKIP_1) | instid1(VALU_DEP_3)
	v_fmac_f16_e32 v50, v41, v83
	v_lshrrev_b32_e32 v41, 16, v84
	v_fma_f16 v51, v51, v83, -v42
	v_lshrrev_b32_e32 v42, 16, v85
	s_delay_alu instid0(VALU_DEP_3) | instskip(SKIP_1) | instid1(VALU_DEP_3)
	v_mul_f16_e32 v46, v92, v41
	v_mul_f16_e32 v41, v43, v41
	v_mul_f16_e32 v54, v96, v42
	s_delay_alu instid0(VALU_DEP_3) | instskip(NEXT) | instid1(VALU_DEP_3)
	v_fmac_f16_e32 v46, v43, v84
	v_fma_f16 v48, v92, v84, -v41
	v_mul_f16_e32 v41, v38, v42
	s_delay_alu instid0(VALU_DEP_4) | instskip(NEXT) | instid1(VALU_DEP_2)
	v_fmac_f16_e32 v54, v38, v85
	v_fma_f16 v55, v96, v85, -v41
	s_wait_loadcnt 0x2
	v_lshrrev_b32_e32 v42, 16, v74
	v_lshrrev_b32_e32 v41, 16, v75
	;; [unrolled: 1-line block ×3, first 2 shown]
	s_wait_loadcnt 0x1
	v_lshrrev_b32_e32 v83, 16, v78
	s_wait_loadcnt 0x0
	v_lshrrev_b32_e32 v84, 16, v79
	v_mul_f16_e32 v38, v89, v42
	v_mul_f16_e32 v43, v39, v42
	;; [unrolled: 1-line block ×3, first 2 shown]
	s_delay_alu instid0(VALU_DEP_3) | instskip(NEXT) | instid1(VALU_DEP_3)
	v_fmac_f16_e32 v38, v39, v74
	v_fma_f16 v39, v89, v74, -v43
	v_mul_f16_e32 v43, v40, v41
	v_lshrrev_b32_e32 v74, 16, v77
	v_mul_f16_e32 v41, v93, v80
	v_mul_f16_e32 v80, v36, v80
	v_fmac_f16_e32 v42, v40, v75
	v_fma_f16 v43, v94, v75, -v43
	v_mul_f16_e32 v40, v97, v74
	v_fmac_f16_e32 v41, v36, v76
	v_fma_f16 v36, v93, v76, -v80
	v_mul_f16_e32 v74, v37, v74
	ds_load_u16 v80, v30 offset:6720
	v_lshrrev_b32_e32 v75, 16, v86
	v_fmac_f16_e32 v40, v37, v77
	v_lshrrev_b32_e32 v76, 16, v90
	v_fma_f16 v37, v97, v77, -v74
	ds_load_u16 v77, v30 offset:6960
	v_mul_f16_e32 v74, v98, v75
	v_mul_f16_e32 v75, v35, v75
	;; [unrolled: 1-line block ×4, first 2 shown]
	s_delay_alu instid0(VALU_DEP_4) | instskip(NEXT) | instid1(VALU_DEP_4)
	v_fmac_f16_e32 v74, v35, v86
	v_fma_f16 v35, v98, v86, -v75
	v_mul_f16_e32 v75, v100, v82
	v_mul_f16_e32 v82, v12, v82
	v_fmac_f16_e32 v81, v34, v90
	ds_load_u16 v34, v31
	ds_load_u16 v85, v18
	;; [unrolled: 1-line block ×4, first 2 shown]
	v_fma_f16 v76, v99, v90, -v76
	v_fmac_f16_e32 v75, v12, v104
	v_mul_f16_e32 v12, v13, v83
	s_wait_dscnt 0x5
	v_mul_f16_e32 v88, v80, v83
	v_fma_f16 v82, v100, v104, -v82
	global_wb scope:SCOPE_SE
	s_wait_dscnt 0x0
	s_barrier_signal -1
	v_fma_f16 v12, v80, v78, -v12
	v_mul_f16_e32 v83, v77, v84
	v_fmac_f16_e32 v88, v13, v78
	v_mul_f16_e32 v13, v14, v84
	v_add_f16_e32 v78, v71, v101
	v_add_f16_e32 v80, v73, v35
	v_fmac_f16_e32 v83, v14, v79
	v_add_f16_e32 v14, v10, v71
	v_fma_f16 v13, v77, v79, -v13
	v_add_f16_e32 v77, v95, v103
	v_fmac_f16_e32 v10, -0.5, v78
	v_sub_f16_e32 v78, v95, v103
	v_add_f16_e32 v79, v52, v95
	v_sub_f16_e32 v71, v71, v101
	v_fmac_f16_e32 v52, -0.5, v77
	v_add_f16_e32 v84, v62, v73
	v_fmamk_f16 v77, v78, 0xbaee, v10
	v_fmac_f16_e32 v10, 0x3aee, v78
	v_add_f16_e32 v78, v79, v103
	v_add_f16_e32 v79, v70, v74
	v_fmac_f16_e32 v62, -0.5, v80
	v_sub_f16_e32 v80, v70, v74
	v_add_f16_e32 v70, v59, v70
	v_sub_f16_e32 v73, v73, v35
	v_fmac_f16_e32 v59, -0.5, v79
	v_fmamk_f16 v79, v71, 0x3aee, v52
	v_fmac_f16_e32 v52, 0xbaee, v71
	v_fmamk_f16 v71, v80, 0x3aee, v62
	v_fmac_f16_e32 v62, 0xbaee, v80
	v_add_f16_e32 v70, v70, v74
	v_fmamk_f16 v74, v73, 0xbaee, v59
	v_fmac_f16_e32 v59, 0x3aee, v73
	v_mul_f16_e32 v73, 0xbaee, v71
	v_mul_f16_e32 v80, 0xbaee, v62
	v_mul_f16_e32 v71, 0.5, v71
	v_mul_f16_e32 v62, -0.5, v62
	v_add_f16_e32 v14, v14, v101
	v_add_f16_e32 v35, v84, v35
	v_fmac_f16_e32 v73, 0.5, v74
	v_fmac_f16_e32 v80, -0.5, v59
	v_fmac_f16_e32 v71, 0x3aee, v74
	v_fmac_f16_e32 v62, 0x3aee, v59
	v_add_f16_e32 v84, v14, v70
	v_add_f16_e32 v59, v77, v73
	;; [unrolled: 1-line block ×3, first 2 shown]
	v_sub_f16_e32 v14, v14, v70
	v_add_f16_e32 v70, v78, v35
	v_sub_f16_e32 v73, v77, v73
	v_add_f16_e32 v77, v79, v71
	;; [unrolled: 2-line block ×6, first 2 shown]
	v_fmac_f16_e32 v9, -0.5, v35
	v_sub_f16_e32 v35, v69, v72
	v_add_f16_e32 v62, v79, v68
	v_add_f16_e32 v69, v86, v69
	v_fmac_f16_e32 v86, -0.5, v52
	v_sub_f16_e32 v52, v67, v68
	v_add_f16_e32 v68, v66, v76
	v_fmamk_f16 v67, v35, 0xbaee, v9
	v_fmac_f16_e32 v9, 0x3aee, v35
	v_add_f16_e32 v35, v69, v72
	v_add_f16_e32 v69, v65, v81
	;; [unrolled: 1-line block ×3, first 2 shown]
	v_fmac_f16_e32 v57, -0.5, v68
	v_sub_f16_e32 v68, v65, v81
	v_add_f16_e32 v65, v53, v65
	v_fmac_f16_e32 v53, -0.5, v69
	v_fmamk_f16 v69, v52, 0x3aee, v86
	v_sub_f16_e32 v66, v66, v76
	v_fmac_f16_e32 v86, 0xbaee, v52
	v_fmamk_f16 v52, v68, 0x3aee, v57
	v_fmac_f16_e32 v57, 0xbaee, v68
	v_add_f16_e32 v65, v65, v81
	v_fmamk_f16 v68, v66, 0xbaee, v53
	v_fmac_f16_e32 v53, 0x3aee, v66
	v_mul_f16_e32 v66, 0xbaee, v52
	v_mul_f16_e32 v79, 0xbaee, v57
	v_mul_f16_e32 v52, 0.5, v52
	v_mul_f16_e32 v57, -0.5, v57
	v_add_f16_e32 v72, v72, v76
	v_fmac_f16_e32 v66, 0.5, v68
	v_fmac_f16_e32 v79, -0.5, v53
	v_fmac_f16_e32 v52, 0x3aee, v68
	v_fmac_f16_e32 v57, 0x3aee, v53
	v_add_f16_e32 v76, v62, v65
	v_add_f16_e32 v53, v67, v66
	v_add_f16_e32 v68, v9, v79
	v_sub_f16_e32 v62, v62, v65
	v_add_f16_e32 v65, v35, v72
	v_sub_f16_e32 v66, v67, v66
	v_add_f16_e32 v67, v69, v52
	;; [unrolled: 2-line block ×6, first 2 shown]
	v_fmac_f16_e32 v6, -0.5, v35
	v_sub_f16_e32 v35, v61, v64
	v_add_f16_e32 v52, v52, v63
	v_add_f16_e32 v61, v85, v61
	v_fmac_f16_e32 v85, -0.5, v57
	v_sub_f16_e32 v57, v58, v63
	v_add_f16_e32 v63, v60, v82
	v_fmamk_f16 v58, v35, 0xbaee, v6
	v_fmac_f16_e32 v6, 0x3aee, v35
	v_add_f16_e32 v35, v61, v64
	v_add_f16_e32 v61, v56, v75
	;; [unrolled: 1-line block ×3, first 2 shown]
	v_fmac_f16_e32 v49, -0.5, v63
	v_sub_f16_e32 v63, v56, v75
	v_add_f16_e32 v56, v47, v56
	v_fmac_f16_e32 v47, -0.5, v61
	v_fmamk_f16 v61, v57, 0x3aee, v85
	v_sub_f16_e32 v60, v60, v82
	v_fmac_f16_e32 v85, 0xbaee, v57
	v_fmamk_f16 v57, v63, 0x3aee, v49
	v_fmac_f16_e32 v49, 0xbaee, v63
	v_add_f16_e32 v56, v56, v75
	v_fmamk_f16 v63, v60, 0xbaee, v47
	v_fmac_f16_e32 v47, 0x3aee, v60
	v_mul_f16_e32 v60, 0xbaee, v57
	v_mul_f16_e32 v75, 0xbaee, v49
	v_mul_f16_e32 v57, 0.5, v57
	v_mul_f16_e32 v49, -0.5, v49
	v_add_f16_e32 v64, v64, v82
	v_fmac_f16_e32 v60, 0.5, v63
	v_fmac_f16_e32 v75, -0.5, v47
	v_fmac_f16_e32 v57, 0x3aee, v63
	v_fmac_f16_e32 v49, 0x3aee, v47
	v_add_f16_e32 v86, v35, v64
	v_sub_f16_e32 v64, v35, v64
	v_add_f16_e32 v63, v6, v75
	v_add_f16_e32 v90, v61, v57
	v_sub_f16_e32 v6, v6, v75
	v_add_f16_e32 v75, v85, v49
	;; [unrolled: 3-line block ×3, first 2 shown]
	v_sub_f16_e32 v85, v85, v49
	v_add_f16_e32 v49, v51, v55
	v_fmac_f16_e32 v2, -0.5, v35
	v_sub_f16_e32 v35, v51, v55
	v_add_f16_e32 v57, v57, v54
	v_add_f16_e32 v51, v34, v51
	v_fmac_f16_e32 v34, -0.5, v49
	v_sub_f16_e32 v49, v50, v54
	v_add_f16_e32 v54, v48, v12
	v_fmamk_f16 v50, v35, 0xbaee, v2
	v_fmac_f16_e32 v2, 0x3aee, v35
	v_add_f16_e32 v35, v51, v55
	v_add_f16_e32 v51, v46, v88
	;; [unrolled: 1-line block ×3, first 2 shown]
	v_fmac_f16_e32 v45, -0.5, v54
	v_sub_f16_e32 v54, v46, v88
	v_add_f16_e32 v46, v44, v46
	v_fmac_f16_e32 v44, -0.5, v51
	v_fmamk_f16 v51, v49, 0x3aee, v34
	v_sub_f16_e32 v48, v48, v12
	v_fmac_f16_e32 v34, 0xbaee, v49
	v_fmamk_f16 v49, v54, 0x3aee, v45
	v_fmac_f16_e32 v45, 0xbaee, v54
	v_add_f16_e32 v82, v52, v56
	v_add_f16_e32 v47, v58, v60
	v_sub_f16_e32 v52, v52, v56
	v_sub_f16_e32 v56, v58, v60
	v_fmamk_f16 v54, v48, 0xbaee, v44
	v_fmac_f16_e32 v44, 0x3aee, v48
	v_mul_f16_e32 v58, 0xbaee, v45
	v_mul_f16_e32 v45, -0.5, v45
	v_add_f16_e32 v12, v55, v12
	v_add_f16_e32 v46, v46, v88
	v_mul_f16_e32 v48, 0xbaee, v49
	v_mul_f16_e32 v49, 0.5, v49
	v_fmac_f16_e32 v45, 0x3aee, v44
	v_add_f16_e32 v88, v35, v12
	v_sub_f16_e32 v12, v35, v12
	v_add_f16_e32 v35, v42, v40
	v_fmac_f16_e32 v49, 0x3aee, v54
	v_add_f16_e32 v94, v34, v45
	v_sub_f16_e32 v95, v34, v45
	v_add_f16_e32 v34, v43, v37
	v_add_f16_e32 v45, v0, v42
	v_fmac_f16_e32 v0, -0.5, v35
	v_sub_f16_e32 v35, v43, v37
	v_add_f16_e32 v43, v87, v43
	v_fmac_f16_e32 v87, -0.5, v34
	v_add_f16_e32 v34, v45, v40
	v_add_f16_e32 v45, v36, v13
	v_sub_f16_e32 v40, v42, v40
	v_fmamk_f16 v42, v35, 0xbaee, v0
	v_fmac_f16_e32 v0, 0x3aee, v35
	v_add_f16_e32 v35, v43, v37
	v_add_f16_e32 v43, v39, v36
	;; [unrolled: 1-line block ×3, first 2 shown]
	v_fmac_f16_e32 v39, -0.5, v45
	v_add_f16_e32 v45, v38, v41
	v_sub_f16_e32 v41, v41, v83
	v_sub_f16_e32 v36, v36, v13
	v_add_f16_e32 v13, v43, v13
	v_fmac_f16_e32 v38, -0.5, v37
	v_fmamk_f16 v37, v40, 0x3aee, v87
	v_fmac_f16_e32 v87, 0xbaee, v40
	v_fmamk_f16 v40, v41, 0x3aee, v39
	v_fmac_f16_e32 v39, 0xbaee, v41
	v_add_f16_e32 v41, v45, v83
	v_add_f16_e32 v83, v35, v13
	v_sub_f16_e32 v13, v35, v13
	s_wait_alu 0xf1ff
	v_cndmask_b32_e64 v35, 0, 0x4b0, s0
	v_add_f16_e32 v92, v51, v49
	v_sub_f16_e32 v93, v51, v49
	v_fmamk_f16 v45, v36, 0xbaee, v38
	v_fmac_f16_e32 v38, 0x3aee, v36
	v_mul_f16_e32 v36, 0xbaee, v40
	v_mul_f16_e32 v49, 0xbaee, v39
	v_mul_f16_e32 v40, 0.5, v40
	v_mul_f16_e32 v39, -0.5, v39
	v_add3_u32 v1, 0, v35, v1
	v_fmac_f16_e32 v48, 0.5, v54
	v_fmac_f16_e32 v58, -0.5, v44
	v_fmac_f16_e32 v36, 0.5, v45
	v_fmac_f16_e32 v49, -0.5, v38
	v_add_f16_e32 v54, v57, v46
	v_fmac_f16_e32 v40, 0x3aee, v45
	v_fmac_f16_e32 v39, 0x3aee, v38
	s_barrier_wait -1
	global_inv scope:SCOPE_SE
	ds_store_b16 v1, v84
	ds_store_b16 v1, v59 offset:200
	ds_store_b16 v1, v74 offset:400
	;; [unrolled: 1-line block ×5, first 2 shown]
	ds_store_b16 v3, v76
	ds_store_b16 v3, v53 offset:200
	ds_store_b16 v3, v68 offset:400
	;; [unrolled: 1-line block ×5, first 2 shown]
	v_lshlrev_b32_e32 v9, 1, v33
	v_add_f16_e32 v44, v50, v48
	v_add_f16_e32 v55, v2, v58
	v_sub_f16_e32 v46, v57, v46
	v_sub_f16_e32 v48, v50, v48
	v_add_f16_e32 v43, v34, v41
	v_add_f16_e32 v38, v42, v36
	v_sub_f16_e32 v34, v34, v41
	v_add_f16_e32 v41, v0, v49
	v_sub_f16_e32 v36, v42, v36
	v_sub_f16_e32 v2, v2, v58
	;; [unrolled: 1-line block ×3, first 2 shown]
	v_add_f16_e32 v96, v37, v40
	v_add_f16_e32 v97, v87, v39
	v_sub_f16_e32 v98, v37, v40
	v_sub_f16_e32 v87, v87, v39
	ds_store_b16 v4, v82
	ds_store_b16 v4, v47 offset:200
	ds_store_b16 v4, v63 offset:400
	;; [unrolled: 1-line block ×5, first 2 shown]
	v_add3_u32 v6, 0, v8, v9
	ds_store_b16 v7, v54
	ds_store_b16 v7, v44 offset:200
	ds_store_b16 v7, v55 offset:400
	;; [unrolled: 1-line block ×5, first 2 shown]
	ds_store_b16 v6, v43
	ds_store_b16 v6, v38 offset:200
	ds_store_b16 v6, v41 offset:400
	;; [unrolled: 1-line block ×5, first 2 shown]
	global_wb scope:SCOPE_SE
	s_wait_dscnt 0x0
	s_barrier_signal -1
	s_barrier_wait -1
	global_inv scope:SCOPE_SE
	ds_load_u16 v43, v30 offset:6480
	ds_load_u16 v33, v30
	ds_load_u16 v59, v30 offset:1200
	ds_load_u16 v37, v30 offset:1440
	ds_load_u16 v44, v30 offset:1680
	ds_load_u16 v50, v30 offset:1920
	ds_load_u16 v45, v30 offset:2880
	ds_load_u16 v51, v30 offset:3120
	ds_load_u16 v34, v30 offset:4800
	ds_load_u16 v38, v30 offset:5040
	ds_load_u16 v46, v30 offset:5280
	ds_load_u16 v52, v30 offset:5520
	ds_load_u16 v49, v30 offset:6720
	ds_load_u16 v40, v30 offset:2640
	ds_load_u16 v60, v30 offset:2400
	ds_load_u16 v54, v30 offset:2160
	ds_load_u16 v47, v30 offset:4080
	ds_load_u16 v53, v30 offset:4320
	ds_load_u16 v56, v30 offset:4560
	ds_load_u16 v41, v30 offset:3840
	ds_load_u16 v61, v30 offset:3600
	ds_load_u16 v57, v30 offset:3360
	ds_load_u16 v39, v30 offset:6240
	ds_load_u16 v62, v30 offset:6000
	ds_load_u16 v58, v30 offset:5760
	ds_load_u16 v36, v18
	ds_load_u16 v35, v17
	;; [unrolled: 1-line block ×4, first 2 shown]
	ds_load_u16 v55, v30 offset:6960
	global_wb scope:SCOPE_SE
	s_wait_dscnt 0x0
	s_barrier_signal -1
	s_barrier_wait -1
	global_inv scope:SCOPE_SE
	ds_store_b16 v1, v70
	ds_store_b16 v1, v77 offset:200
	ds_store_b16 v1, v80 offset:400
	ds_store_b16 v1, v78 offset:600
	ds_store_b16 v1, v71 offset:800
	ds_store_b16 v1, v89 offset:1000
	ds_store_b16 v3, v65
	ds_store_b16 v3, v67 offset:200
	ds_store_b16 v3, v79 offset:400
	ds_store_b16 v3, v72 offset:600
	ds_store_b16 v3, v69 offset:800
	ds_store_b16 v3, v81 offset:1000
	;; [unrolled: 6-line block ×5, first 2 shown]
	global_wb scope:SCOPE_SE
	s_wait_dscnt 0x0
	s_barrier_signal -1
	s_barrier_wait -1
	global_inv scope:SCOPE_SE
	s_and_saveexec_b32 s0, vcc_lo
	s_cbranch_execz .LBB0_15
; %bb.14:
	v_mul_i32_i24_e32 v4, 5, v16
	v_mul_u32_u24_e32 v0, 5, v24
	v_mul_i32_i24_e32 v71, 0xffffffee, v26
	v_mul_i32_i24_e32 v72, 0xffffffee, v27
	v_mul_lo_u32 v73, s3, v22
	v_lshlrev_b64_e32 v[6:7], 2, v[4:5]
	v_mul_i32_i24_e32 v4, 5, v25
	v_lshlrev_b32_e32 v8, 2, v0
	v_mul_lo_u32 v74, s2, v23
	v_mad_co_u64_u32 v[22:23], null, s2, v22, 0
	v_add_co_u32 v6, vcc_lo, s8, v6
	s_wait_alu 0xfffd
	v_add_co_ci_u32_e32 v7, vcc_lo, s9, v7, vcc_lo
	s_clause 0x1
	global_load_b128 v[0:3], v8, s[8:9] offset:2360
	global_load_b32 v69, v8, s[8:9] offset:2376
	v_add_nc_u32_e32 v29, v29, v72
	s_clause 0x1
	global_load_b128 v[16:19], v[6:7], off offset:2360
	global_load_b32 v68, v[6:7], off offset:2376
	v_lshlrev_b64_e32 v[6:7], 2, v[4:5]
	v_mul_i32_i24_e32 v4, 5, v27
	v_add_nc_u32_e32 v28, v28, v71
	v_add3_u32 v23, v23, v74, v73
	v_lshlrev_b64_e32 v[20:21], 2, v[20:21]
	v_add_co_u32 v6, vcc_lo, s8, v6
	s_wait_alu 0xfffd
	v_add_co_ci_u32_e32 v7, vcc_lo, s9, v7, vcc_lo
	v_lshlrev_b64_e32 v[22:23], 2, v[22:23]
	s_clause 0x1
	global_load_b128 v[12:15], v[6:7], off offset:2360
	global_load_b32 v65, v[6:7], off offset:2376
	v_lshlrev_b64_e32 v[6:7], 2, v[4:5]
	v_mul_i32_i24_e32 v4, 5, v26
	s_delay_alu instid0(VALU_DEP_1) | instskip(NEXT) | instid1(VALU_DEP_3)
	v_lshlrev_b64_e32 v[4:5], 2, v[4:5]
	v_add_co_u32 v6, vcc_lo, s8, v6
	s_wait_alu 0xfffd
	s_delay_alu instid0(VALU_DEP_4)
	v_add_co_ci_u32_e32 v7, vcc_lo, s9, v7, vcc_lo
	s_clause 0x1
	global_load_b128 v[8:11], v[6:7], off offset:2360
	global_load_b32 v64, v[6:7], off offset:2376
	v_add_co_u32 v66, vcc_lo, s8, v4
	s_wait_alu 0xfffd
	v_add_co_ci_u32_e32 v67, vcc_lo, s9, v5, vcc_lo
	s_clause 0x1
	global_load_b128 v[4:7], v[66:67], off offset:2360
	global_load_b32 v63, v[66:67], off offset:2376
	ds_load_u16 v26, v30 offset:2640
	ds_load_u16 v75, v30 offset:2400
	;; [unrolled: 1-line block ×10, first 2 shown]
	ds_load_u16 v25, v30
	ds_load_u16 v80, v30 offset:1200
	ds_load_u16 v81, v30 offset:3600
	;; [unrolled: 1-line block ×9, first 2 shown]
	ds_load_u16 v32, v32
	ds_load_u16 v31, v31
	ds_load_u16 v89, v30 offset:6960
	ds_load_u16 v90, v30 offset:6720
	;; [unrolled: 1-line block ×6, first 2 shown]
	ds_load_u16 v29, v29
	ds_load_u16 v28, v28
	s_wait_loadcnt 0x9
	v_lshrrev_b32_e32 v73, 16, v1
	v_lshrrev_b32_e32 v74, 16, v3
	;; [unrolled: 1-line block ×4, first 2 shown]
	s_wait_loadcnt 0x8
	v_lshrrev_b32_e32 v94, 16, v69
	v_mul_f16_e32 v95, v60, v73
	v_mul_f16_e32 v96, v34, v74
	s_wait_dscnt 0x1c
	v_mul_f16_e32 v73, v75, v73
	s_wait_dscnt 0x12
	;; [unrolled: 2-line block ×3, first 2 shown]
	v_mul_f16_e32 v98, v93, v81
	v_mul_f16_e32 v92, v59, v92
	;; [unrolled: 1-line block ×5, first 2 shown]
	s_wait_loadcnt 0x7
	v_lshrrev_b32_e32 v100, 16, v17
	v_lshrrev_b32_e32 v101, 16, v19
	;; [unrolled: 1-line block ×4, first 2 shown]
	s_wait_loadcnt 0x6
	v_lshrrev_b32_e32 v104, 16, v68
	v_mul_f16_e32 v74, v79, v74
	v_fma_f16 v75, v1, v75, -v95
	v_fma_f16 v79, v3, v79, -v96
	v_fmac_f16_e32 v97, v59, v0
	v_fmac_f16_e32 v98, v61, v2
	v_fmac_f16_e32 v99, v62, v69
	v_fma_f16 v59, v2, v81, -v93
	v_fma_f16 v61, v69, v76, -v94
	;; [unrolled: 1-line block ×3, first 2 shown]
	v_fmac_f16_e32 v73, v60, v1
	v_mul_f16_e32 v0, v57, v100
	v_mul_f16_e32 v1, v58, v101
	s_wait_dscnt 0xc
	v_mul_f16_e32 v2, v86, v100
	v_mul_f16_e32 v60, v77, v101
	s_wait_dscnt 0x5
	v_mul_f16_e32 v69, v102, v71
	v_mul_f16_e32 v76, v103, v82
	;; [unrolled: 1-line block ×4, first 2 shown]
	s_wait_loadcnt 0x5
	v_lshrrev_b32_e32 v92, 16, v13
	v_lshrrev_b32_e32 v93, 16, v15
	;; [unrolled: 1-line block ×4, first 2 shown]
	v_mul_f16_e32 v96, v104, v89
	v_mul_f16_e32 v100, v55, v104
	s_wait_loadcnt 0x4
	v_lshrrev_b32_e32 v101, 16, v65
	v_fma_f16 v0, v17, v86, -v0
	v_fma_f16 v1, v19, v77, -v1
	v_fmac_f16_e32 v2, v57, v17
	v_fmac_f16_e32 v60, v58, v19
	;; [unrolled: 1-line block ×4, first 2 shown]
	v_fma_f16 v17, v18, v82, -v80
	v_fma_f16 v16, v16, v71, -v81
	v_mul_f16_e32 v18, v51, v92
	v_mul_f16_e32 v19, v52, v93
	v_mul_f16_e32 v54, v87, v92
	v_mul_f16_e32 v56, v78, v93
	s_wait_dscnt 0x4
	v_mul_f16_e32 v57, v94, v72
	v_mul_f16_e32 v58, v95, v83
	;; [unrolled: 1-line block ×4, first 2 shown]
	s_wait_loadcnt 0x3
	v_lshrrev_b32_e32 v80, 16, v9
	v_lshrrev_b32_e32 v81, 16, v11
	v_lshrrev_b32_e32 v82, 16, v8
	v_lshrrev_b32_e32 v86, 16, v10
	v_fmac_f16_e32 v96, v55, v68
	v_fma_f16 v55, v68, v89, -v100
	v_mul_f16_e32 v68, v101, v90
	v_mul_f16_e32 v89, v49, v101
	s_wait_loadcnt 0x2
	v_lshrrev_b32_e32 v92, 16, v64
	v_fma_f16 v18, v13, v87, -v18
	v_fma_f16 v19, v15, v78, -v19
	v_fmac_f16_e32 v54, v51, v13
	v_fmac_f16_e32 v56, v52, v15
	;; [unrolled: 1-line block ×4, first 2 shown]
	v_fma_f16 v13, v14, v83, -v71
	v_fma_f16 v12, v12, v72, -v77
	v_mul_f16_e32 v14, v45, v80
	v_mul_f16_e32 v15, v46, v81
	;; [unrolled: 1-line block ×4, first 2 shown]
	s_wait_dscnt 0x3
	v_mul_f16_e32 v52, v82, v91
	v_mul_f16_e32 v53, v86, v84
	;; [unrolled: 1-line block ×3, first 2 shown]
	v_add_f16_e32 v77, v17, v55
	v_fmac_f16_e32 v68, v49, v65
	v_add_f16_e32 v49, v0, v1
	v_fma_f16 v65, v65, v90, -v89
	v_sub_f16_e32 v78, v2, v60
	v_add_f16_e32 v80, v76, v96
	v_add_f16_e32 v86, v2, v60
	;; [unrolled: 1-line block ×3, first 2 shown]
	v_mul_f16_e32 v87, v92, v66
	v_mul_f16_e32 v89, v43, v92
	s_wait_loadcnt 0x1
	v_lshrrev_b32_e32 v90, 16, v4
	v_lshrrev_b32_e32 v95, 16, v7
	v_mul_f16_e32 v71, v44, v82
	v_add_f16_e32 v81, v16, v17
	v_add_f16_e32 v82, v32, v0
	v_add_f16_e32 v83, v69, v76
	v_lshrrev_b32_e32 v94, 16, v6
	s_wait_loadcnt 0x0
	v_lshrrev_b32_e32 v100, 16, v63
	v_sub_f16_e32 v17, v17, v55
	v_sub_f16_e32 v76, v76, v96
	v_lshrrev_b32_e32 v92, 16, v5
	v_fma_f16 v14, v9, v88, -v14
	v_fma_f16 v15, v11, v70, -v15
	v_fmac_f16_e32 v50, v45, v9
	v_fmac_f16_e32 v51, v46, v11
	;; [unrolled: 1-line block ×4, first 2 shown]
	v_fma_f16 v9, v10, v84, -v72
	v_fma_f16 v11, -0.5, v77, v16
	v_fma_f16 v16, -0.5, v49, v32
	;; [unrolled: 1-line block ×4, first 2 shown]
	v_add_f16_e32 v45, v2, v60
	v_fmac_f16_e32 v87, v43, v64
	v_fma_f16 v47, v64, v66, -v89
	v_add_f16_e32 v48, v13, v65
	v_add_f16_e32 v60, v54, v56
	v_mul_f16_e32 v77, v67, v95
	s_wait_dscnt 0x2
	v_mul_f16_e32 v80, v90, v30
	v_sub_f16_e32 v0, v0, v1
	v_fma_f16 v10, v8, v91, -v71
	v_add_f16_e32 v1, v82, v1
	v_add_f16_e32 v8, v81, v55
	;; [unrolled: 1-line block ×5, first 2 shown]
	v_mul_f16_e32 v81, v94, v85
	v_mul_f16_e32 v82, v100, v27
	;; [unrolled: 1-line block ×4, first 2 shown]
	v_add_f16_e32 v43, v18, v19
	v_add_f16_e32 v49, v31, v18
	;; [unrolled: 1-line block ×3, first 2 shown]
	v_sub_f16_e32 v18, v18, v19
	v_add_f16_e32 v64, v58, v68
	v_mul_f16_e32 v70, v40, v92
	v_sub_f16_e32 v58, v58, v68
	v_mul_f16_e32 v71, v38, v95
	v_mul_f16_e32 v72, v26, v92
	;; [unrolled: 1-line block ×3, first 2 shown]
	v_fmamk_f16 v88, v78, 0xbaee, v16
	v_fmac_f16_e32 v16, 0x3aee, v78
	v_fmamk_f16 v78, v17, 0x3aee, v32
	v_fmac_f16_e32 v32, 0xbaee, v17
	;; [unrolled: 2-line block ×3, first 2 shown]
	v_fma_f16 v12, -0.5, v48, v12
	v_fma_f16 v42, -0.5, v60, v42
	v_fmac_f16_e32 v77, v38, v7
	v_fmac_f16_e32 v80, v37, v4
	v_add_f16_e32 v37, v53, v87
	v_add_f16_e32 v38, v9, v47
	v_fmamk_f16 v76, v0, 0x3aee, v44
	v_fmac_f16_e32 v44, 0xbaee, v0
	v_sub_f16_e32 v0, v1, v8
	v_add_f16_e32 v2, v1, v8
	v_sub_f16_e32 v1, v45, v46
	v_add_f16_e32 v8, v45, v46
	v_add_f16_e32 v46, v66, v56
	;; [unrolled: 1-line block ×3, first 2 shown]
	v_fmac_f16_e32 v81, v41, v6
	v_fma_f16 v6, v6, v85, -v83
	v_fmac_f16_e32 v82, v39, v63
	v_fma_f16 v27, v63, v27, -v84
	v_add_f16_e32 v19, v49, v19
	v_fma_f16 v49, v5, v26, -v70
	v_fmac_f16_e32 v72, v40, v5
	v_add_f16_e32 v5, v14, v15
	v_fma_f16 v4, v4, v30, -v86
	v_sub_f16_e32 v30, v9, v47
	v_sub_f16_e32 v40, v53, v87
	v_mul_f16_e32 v60, 0.5, v11
	v_mul_f16_e32 v63, 0xbaee, v11
	v_fmamk_f16 v11, v58, 0xbaee, v12
	v_fmac_f16_e32 v12, 0x3aee, v58
	v_fmamk_f16 v58, v18, 0x3aee, v42
	v_fmac_f16_e32 v42, 0xbaee, v18
	v_fma_f16 v37, -0.5, v37, v52
	v_fma_f16 v18, -0.5, v38, v10
	v_sub_f16_e32 v13, v13, v65
	v_sub_f16_e32 v54, v54, v56
	v_fma_f16 v43, -0.5, v43, v31
	v_add_f16_e32 v31, v55, v65
	v_fma_f16 v45, -0.5, v64, v57
	v_fma_f16 v55, v7, v67, -v71
	v_sub_f16_e32 v7, v50, v51
	s_wait_dscnt 0x1
	v_add_f16_e32 v41, v29, v14
	v_add_f16_e32 v56, v50, v51
	v_sub_f16_e32 v57, v14, v15
	v_add_f16_e32 v50, v36, v50
	v_add_f16_e32 v53, v52, v53
	v_mul_f16_e32 v39, -0.5, v17
	v_mul_f16_e32 v17, 0xbaee, v17
	v_sub_f16_e32 v14, v46, v48
	v_add_f16_e32 v26, v46, v48
	v_add_f16_e32 v38, v81, v82
	;; [unrolled: 1-line block ×4, first 2 shown]
	v_fma_f16 v46, -0.5, v5, v29
	v_fmac_f16_e32 v63, 0.5, v32
	v_fmamk_f16 v70, v30, 0x3aee, v37
	v_fmac_f16_e32 v37, 0xbaee, v30
	v_fmamk_f16 v30, v40, 0xbaee, v18
	v_fmac_f16_e32 v18, 0x3aee, v40
	;; [unrolled: 2-line block ×4, first 2 shown]
	v_add_f16_e32 v5, v41, v15
	v_add_f16_e32 v10, v50, v51
	;; [unrolled: 1-line block ×3, first 2 shown]
	v_sub_f16_e32 v50, v81, v82
	s_wait_dscnt 0x0
	v_add_f16_e32 v51, v28, v49
	v_add_f16_e32 v52, v72, v77
	v_add_f16_e32 v53, v35, v72
	v_fmac_f16_e32 v39, 0x3aee, v78
	v_fmac_f16_e32 v17, -0.5, v78
	v_mul_f16_e32 v66, 0.5, v12
	v_mul_f16_e32 v68, 0xbaee, v12
	v_fma_f16 v78, -0.5, v38, v80
	v_fma_f16 v38, -0.5, v48, v4
	v_add_f16_e32 v9, v9, v47
	v_sub_f16_e32 v47, v6, v27
	v_add_f16_e32 v6, v4, v6
	v_mul_f16_e32 v65, -0.5, v11
	v_fmamk_f16 v69, v7, 0xbaee, v46
	v_fmac_f16_e32 v46, 0x3aee, v7
	v_sub_f16_e32 v7, v44, v63
	v_add_f16_e32 v12, v44, v63
	v_mul_f16_e32 v44, 0.5, v18
	v_fma_f16 v41, -0.5, v56, v36
	v_add_f16_e32 v29, v49, v55
	v_fmac_f16_e32 v60, 0x3aee, v32
	v_sub_f16_e32 v32, v10, v15
	v_add_f16_e32 v71, v10, v15
	v_add_f16_e32 v15, v51, v55
	v_fma_f16 v48, -0.5, v52, v35
	v_add_f16_e32 v51, v53, v77
	v_fmac_f16_e32 v66, 0x3aee, v45
	v_fmac_f16_e32 v68, 0.5, v45
	v_mul_f16_e32 v45, 0xbaee, v30
	v_mul_f16_e32 v53, 0xbaee, v18
	v_fmamk_f16 v35, v50, 0xbaee, v38
	v_add_f16_e32 v56, v80, v81
	v_add_f16_e32 v27, v6, v27
	v_fmac_f16_e32 v65, 0x3aee, v54
	v_fmac_f16_e32 v44, 0x3aee, v37
	v_add_f16_e32 v102, v75, v79
	v_add_f16_e32 v103, v98, v99
	v_sub_f16_e32 v13, v19, v31
	v_add_f16_e32 v19, v19, v31
	v_sub_f16_e32 v36, v72, v77
	v_sub_f16_e32 v49, v49, v55
	v_mul_f16_e32 v67, 0xbaee, v11
	v_fmamk_f16 v40, v57, 0x3aee, v41
	v_fmac_f16_e32 v41, 0xbaee, v57
	v_sub_f16_e32 v31, v5, v9
	v_add_f16_e32 v57, v5, v9
	v_fma_f16 v72, -0.5, v29, v28
	v_sub_f16_e32 v4, v88, v39
	v_add_f16_e32 v9, v88, v39
	v_mul_f16_e32 v39, -0.5, v30
	v_fmamk_f16 v55, v47, 0x3aee, v78
	v_fmac_f16_e32 v38, 0x3aee, v50
	v_sub_f16_e32 v18, v42, v68
	v_add_f16_e32 v30, v42, v68
	v_fmac_f16_e32 v45, -0.5, v70
	v_fmac_f16_e32 v53, 0.5, v37
	v_mul_f16_e32 v42, -0.5, v35
	v_fmac_f16_e32 v74, v34, v3
	v_add_f16_e32 v52, v56, v82
	v_sub_f16_e32 v56, v15, v27
	v_add_f16_e32 v63, v15, v27
	v_sub_f16_e32 v15, v64, v65
	;; [unrolled: 2-line block ×3, first 2 shown]
	v_add_f16_e32 v64, v46, v44
	v_mul_hi_u32 v44, 0x1b4e81b5, v24
	v_sub_f16_e32 v5, v76, v17
	v_add_f16_e32 v10, v76, v17
	v_fmac_f16_e32 v67, -0.5, v54
	v_fmamk_f16 v54, v36, 0xbaee, v72
	v_fmac_f16_e32 v72, 0x3aee, v36
	v_fmac_f16_e32 v78, 0xbaee, v47
	v_fmamk_f16 v47, v49, 0x3aee, v48
	v_fmac_f16_e32 v48, 0xbaee, v49
	v_sub_f16_e32 v17, v43, v66
	v_add_f16_e32 v29, v43, v66
	v_mul_f16_e32 v43, 0.5, v38
	v_mul_f16_e32 v49, 0xbaee, v35
	v_mul_f16_e32 v50, 0xbaee, v38
	v_sub_f16_e32 v36, v40, v45
	v_sub_f16_e32 v38, v41, v53
	v_add_f16_e32 v65, v40, v45
	v_fmac_f16_e32 v42, 0x3aee, v55
	v_add_f16_e32 v53, v41, v53
	v_fma_f16 v3, -0.5, v103, v97
	v_sub_f16_e32 v34, v59, v61
	v_fma_f16 v41, -0.5, v102, v25
	v_sub_f16_e32 v40, v73, v74
	v_add_f16_e32 v104, v59, v61
	v_fmac_f16_e32 v49, -0.5, v55
	v_sub_f16_e32 v55, v54, v42
	v_add_f16_e32 v54, v54, v42
	v_fmamk_f16 v42, v34, 0x3aee, v3
	v_fmamk_f16 v45, v40, 0xbaee, v41
	v_fmac_f16_e32 v41, 0x3aee, v40
	v_fmac_f16_e32 v3, 0xbaee, v34
	v_add_f16_e32 v34, v62, v59
	v_lshrrev_b32_e32 v40, 6, v44
	v_sub_f16_e32 v105, v98, v99
	v_fma_f16 v93, -0.5, v104, v62
	v_sub_f16_e32 v6, v16, v60
	v_add_f16_e32 v11, v16, v60
	v_sub_f16_e32 v16, v58, v67
	v_add_f16_e32 v28, v58, v67
	v_fmac_f16_e32 v39, 0x3aee, v70
	v_sub_f16_e32 v67, v47, v49
	v_add_f16_e32 v70, v47, v49
	v_add_f16_e32 v47, v34, v61
	v_mul_u32_u24_e32 v34, 0x258, v40
	v_sub_f16_e32 v35, v69, v39
	v_add_f16_e32 v58, v69, v39
	v_fmac_f16_e32 v43, 0x3aee, v78
	v_fmamk_f16 v39, v105, 0xbaee, v93
	v_sub_nc_u32_e32 v49, v24, v34
	v_fmac_f16_e32 v50, 0.5, v78
	v_fmac_f16_e32 v93, 0x3aee, v105
	v_add_f16_e32 v44, v73, v74
	v_sub_f16_e32 v66, v72, v43
	v_add_f16_e32 v69, v72, v43
	v_mul_f16_e32 v43, -0.5, v39
	v_mul_f16_e32 v62, 0xbaee, v39
	v_mad_co_u64_u32 v[39:40], null, s16, v49, 0
	v_sub_f16_e32 v68, v48, v50
	v_add_f16_e32 v72, v48, v50
	v_mul_f16_e32 v46, 0.5, v93
	v_add_f16_e32 v25, v25, v75
	v_fma_f16 v48, -0.5, v44, v33
	v_sub_f16_e32 v44, v75, v79
	v_mul_f16_e32 v75, 0xbaee, v93
	v_fmac_f16_e32 v46, 0x3aee, v3
	v_add_f16_e32 v33, v33, v73
	v_add_f16_e32 v34, v97, v98
	v_fmac_f16_e32 v43, 0x3aee, v42
	v_fmac_f16_e32 v75, 0.5, v3
	v_mov_b32_e32 v3, v40
	v_fmac_f16_e32 v62, -0.5, v42
	v_add_f16_e32 v42, v33, v74
	v_add_f16_e32 v40, v34, v99
	v_sub_f16_e32 v59, v41, v46
	v_mad_co_u64_u32 v[33:34], null, s17, v49, v[3:4]
	v_add_f16_e32 v46, v41, v46
	v_add_nc_u32_e32 v41, 0x258, v49
	v_sub_f16_e32 v60, v51, v52
	v_add_f16_e32 v51, v51, v52
	v_sub_f16_e32 v52, v45, v43
	v_sub_f16_e32 v76, v42, v40
	v_add_f16_e32 v77, v45, v43
	v_add_f16_e32 v43, v42, v40
	v_mov_b32_e32 v40, v33
	v_add_co_u32 v3, vcc_lo, s6, v22
	v_mad_co_u64_u32 v[33:34], null, s16, v41, 0
	s_wait_alu 0xfffd
	v_add_co_ci_u32_e32 v42, vcc_lo, s7, v23, vcc_lo
	v_lshlrev_b64_e32 v[22:23], 2, v[39:40]
	v_add_co_u32 v3, vcc_lo, v3, v20
	s_wait_alu 0xfffd
	s_delay_alu instid0(VALU_DEP_3) | instskip(SKIP_1) | instid1(VALU_DEP_3)
	v_add_co_ci_u32_e32 v20, vcc_lo, v42, v21, vcc_lo
	v_mov_b32_e32 v21, v34
	v_add_co_u32 v22, vcc_lo, v3, v22
	v_add_f16_e32 v25, v25, v79
	v_fmamk_f16 v50, v44, 0x3aee, v48
	v_fmac_f16_e32 v48, 0xbaee, v44
	v_add_nc_u32_e32 v44, 0x4b0, v49
	v_mad_co_u64_u32 v[41:42], null, s17, v41, v[21:22]
	v_sub_f16_e32 v61, v25, v47
	v_add_f16_e32 v25, v25, v47
	s_delay_alu instid0(VALU_DEP_4)
	v_mad_co_u64_u32 v[39:40], null, s16, v44, 0
	v_add_nc_u32_e32 v47, 0x708, v49
	v_sub_f16_e32 v74, v48, v75
	v_mov_b32_e32 v34, v41
	v_pack_b32_f16 v25, v43, v25
	s_wait_alu 0xfffd
	v_add_co_ci_u32_e32 v23, vcc_lo, v20, v23, vcc_lo
	v_mad_co_u64_u32 v[42:43], null, s16, v47, 0
	v_mov_b32_e32 v21, v40
	v_add_f16_e32 v41, v48, v75
	v_add_nc_u32_e32 v48, 0x78, v24
	global_store_b32 v[22:23], v25, off
	v_sub_f16_e32 v73, v50, v62
	v_mad_co_u64_u32 v[44:45], null, s17, v44, v[21:22]
	v_mov_b32_e32 v21, v43
	v_mul_hi_u32 v25, 0x1b4e81b5, v48
	v_lshlrev_b64_e32 v[22:23], 2, v[33:34]
	v_add_f16_e32 v50, v50, v62
	v_pack_b32_f16 v62, v41, v46
	v_pack_b32_f16 v52, v73, v52
	v_mov_b32_e32 v40, v44
	v_pack_b32_f16 v38, v38, v37
	v_mad_co_u64_u32 v[33:34], null, s17, v47, v[21:22]
	v_lshrrev_b32_e32 v25, 6, v25
	v_add_nc_u32_e32 v46, 0x960, v49
	v_add_co_u32 v21, vcc_lo, v3, v22
	s_wait_alu 0xfffd
	v_add_co_ci_u32_e32 v22, vcc_lo, v20, v23, vcc_lo
	v_mov_b32_e32 v43, v33
	v_mul_u32_u24_e32 v23, 0x258, v25
	v_mad_co_u64_u32 v[33:34], null, s16, v46, 0
	v_lshlrev_b64_e32 v[39:40], 2, v[39:40]
	v_pack_b32_f16 v75, v50, v77
	s_delay_alu instid0(VALU_DEP_4)
	v_sub_nc_u32_e32 v47, v48, v23
	v_lshlrev_b64_e32 v[41:42], 2, v[42:43]
	v_pack_b32_f16 v43, v76, v61
	v_pack_b32_f16 v15, v16, v15
	v_add_co_u32 v39, vcc_lo, v3, v39
	v_mad_u32_u24 v25, 0xe10, v25, v47
	v_mov_b32_e32 v23, v34
	s_wait_alu 0xfffd
	v_add_co_ci_u32_e32 v40, vcc_lo, v20, v40, vcc_lo
	s_clause 0x1
	global_store_b32 v[21:22], v62, off
	global_store_b32 v[39:40], v75, off
	v_mad_co_u64_u32 v[46:47], null, s17, v46, v[23:24]
	v_add_nc_u32_e32 v49, 0xbb8, v49
	v_mad_co_u64_u32 v[47:48], null, s16, v25, 0
	v_add_co_u32 v41, vcc_lo, v3, v41
	s_wait_alu 0xfffd
	v_add_co_ci_u32_e32 v42, vcc_lo, v20, v42, vcc_lo
	v_mov_b32_e32 v34, v46
	v_mad_co_u64_u32 v[44:45], null, s16, v49, 0
	v_dual_mov_b32 v21, v48 :: v_dual_add_nc_u32 v46, 0x258, v25
	global_store_b32 v[41:42], v43, off
	v_pack_b32_f16 v17, v18, v17
	v_pack_b32_f16 v8, v8, v2
	;; [unrolled: 1-line block ×3, first 2 shown]
	v_mov_b32_e32 v23, v45
	s_delay_alu instid0(VALU_DEP_1) | instskip(SKIP_3) | instid1(VALU_DEP_3)
	v_mad_co_u64_u32 v[49:50], null, s17, v49, v[23:24]
	v_lshlrev_b64_e32 v[22:23], 2, v[33:34]
	v_pack_b32_f16 v50, v74, v59
	v_add_nc_u32_e32 v59, 0x708, v25
	v_mad_co_u64_u32 v[33:34], null, s17, v25, v[21:22]
	v_add_co_u32 v21, vcc_lo, v3, v22
	v_mov_b32_e32 v45, v49
	s_wait_alu 0xfffd
	v_add_co_ci_u32_e32 v22, vcc_lo, v20, v23, vcc_lo
	s_delay_alu instid0(VALU_DEP_4) | instskip(SKIP_2) | instid1(VALU_DEP_3)
	v_dual_mov_b32 v48, v33 :: v_dual_add_nc_u32 v49, 0x4b0, v25
	v_mad_co_u64_u32 v[33:34], null, s16, v46, 0
	v_lshlrev_b64_e32 v[39:40], 2, v[44:45]
	v_mad_co_u64_u32 v[43:44], null, s16, v49, 0
	s_delay_alu instid0(VALU_DEP_4)
	v_lshlrev_b64_e32 v[41:42], 2, v[47:48]
	global_store_b32 v[21:22], v50, off
	v_pack_b32_f16 v50, v72, v69
	v_mov_b32_e32 v23, v34
	v_add_co_u32 v39, vcc_lo, v3, v39
	s_wait_alu 0xfffd
	v_add_co_ci_u32_e32 v40, vcc_lo, v20, v40, vcc_lo
	s_delay_alu instid0(VALU_DEP_3)
	v_mad_co_u64_u32 v[45:46], null, s17, v46, v[23:24]
	v_mov_b32_e32 v23, v44
	v_mad_co_u64_u32 v[46:47], null, s16, v59, 0
	global_store_b32 v[39:40], v52, off
	v_add_co_u32 v41, vcc_lo, v3, v41
	v_dual_mov_b32 v34, v45 :: v_dual_add_nc_u32 v45, 0xf0, v24
	v_mad_co_u64_u32 v[48:49], null, s17, v49, v[23:24]
	s_wait_alu 0xfffd
	v_add_co_ci_u32_e32 v42, vcc_lo, v20, v42, vcc_lo
	s_delay_alu instid0(VALU_DEP_3)
	v_mul_hi_u32 v39, 0x1b4e81b5, v45
	v_pack_b32_f16 v44, v51, v63
	v_lshlrev_b64_e32 v[22:23], 2, v[33:34]
	v_mov_b32_e32 v21, v47
	v_add_nc_u32_e32 v49, 0x960, v25
	v_add_nc_u32_e32 v25, 0xbb8, v25
	global_store_b32 v[41:42], v44, off
	v_mov_b32_e32 v44, v48
	v_lshrrev_b32_e32 v48, 6, v39
	v_mad_co_u64_u32 v[33:34], null, s17, v59, v[21:22]
	v_add_co_u32 v21, vcc_lo, v3, v22
	s_wait_alu 0xfffd
	v_add_co_ci_u32_e32 v22, vcc_lo, v20, v23, vcc_lo
	v_mul_u32_u24_e32 v23, 0x258, v48
	v_lshlrev_b64_e32 v[39:40], 2, v[43:44]
	v_mad_co_u64_u32 v[41:42], null, s16, v25, 0
	v_pack_b32_f16 v51, v70, v54
	s_delay_alu instid0(VALU_DEP_4) | instskip(NEXT) | instid1(VALU_DEP_4)
	v_sub_nc_u32_e32 v45, v45, v23
	v_add_co_u32 v39, vcc_lo, v3, v39
	s_wait_alu 0xfffd
	v_add_co_ci_u32_e32 v40, vcc_lo, v20, v40, vcc_lo
	s_delay_alu instid0(VALU_DEP_3)
	v_mad_u32_u24 v52, 0xe10, v48, v45
	v_mov_b32_e32 v47, v33
	v_mad_co_u64_u32 v[33:34], null, s16, v49, 0
	s_clause 0x1
	global_store_b32 v[21:22], v50, off
	global_store_b32 v[39:40], v51, off
	v_add_nc_u32_e32 v54, 0x708, v52
	v_lshlrev_b64_e32 v[43:44], 2, v[46:47]
	v_pack_b32_f16 v50, v68, v66
	v_pack_b32_f16 v51, v67, v55
	v_mov_b32_e32 v23, v34
	s_delay_alu instid0(VALU_DEP_1)
	v_mad_co_u64_u32 v[45:46], null, s17, v49, v[23:24]
	v_mad_co_u64_u32 v[46:47], null, s16, v52, 0
	v_mov_b32_e32 v23, v42
	v_add_co_u32 v42, vcc_lo, v3, v43
	s_wait_alu 0xfffd
	v_add_co_ci_u32_e32 v43, vcc_lo, v20, v44, vcc_lo
	v_mov_b32_e32 v34, v45
	v_mad_co_u64_u32 v[48:49], null, s17, v25, v[23:24]
	v_mov_b32_e32 v21, v47
	v_pack_b32_f16 v25, v60, v56
	s_delay_alu instid0(VALU_DEP_4)
	v_lshlrev_b64_e32 v[22:23], 2, v[33:34]
	global_store_b32 v[42:43], v25, off
	v_add_nc_u32_e32 v25, 0x258, v52
	v_mad_co_u64_u32 v[33:34], null, s17, v52, v[21:22]
	v_add_co_u32 v21, vcc_lo, v3, v22
	v_mov_b32_e32 v42, v48
	s_wait_alu 0xfffd
	v_add_co_ci_u32_e32 v22, vcc_lo, v20, v23, vcc_lo
	s_delay_alu instid0(VALU_DEP_4) | instskip(SKIP_2) | instid1(VALU_DEP_3)
	v_dual_mov_b32 v47, v33 :: v_dual_add_nc_u32 v48, 0x4b0, v52
	v_mad_co_u64_u32 v[33:34], null, s16, v25, 0
	v_lshlrev_b64_e32 v[39:40], 2, v[41:42]
	v_mad_co_u64_u32 v[43:44], null, s16, v48, 0
	s_delay_alu instid0(VALU_DEP_4)
	v_lshlrev_b64_e32 v[41:42], 2, v[46:47]
	global_store_b32 v[21:22], v50, off
	v_mov_b32_e32 v23, v34
	v_add_co_u32 v39, vcc_lo, v3, v39
	s_wait_alu 0xfffd
	v_add_co_ci_u32_e32 v40, vcc_lo, v20, v40, vcc_lo
	s_delay_alu instid0(VALU_DEP_3)
	v_mad_co_u64_u32 v[45:46], null, s17, v25, v[23:24]
	v_mad_co_u64_u32 v[46:47], null, s16, v54, 0
	v_mov_b32_e32 v23, v44
	v_add_co_u32 v41, vcc_lo, v3, v41
	s_wait_alu 0xfffd
	v_add_co_ci_u32_e32 v42, vcc_lo, v20, v42, vcc_lo
	v_mov_b32_e32 v34, v45
	v_pack_b32_f16 v25, v71, v57
	v_mad_co_u64_u32 v[48:49], null, s17, v48, v[23:24]
	v_mov_b32_e32 v21, v47
	s_delay_alu instid0(VALU_DEP_4)
	v_lshlrev_b64_e32 v[22:23], 2, v[33:34]
	s_clause 0x1
	global_store_b32 v[39:40], v51, off
	global_store_b32 v[41:42], v25, off
	v_add_nc_u32_e32 v25, 0x168, v24
	v_add_nc_u32_e32 v45, 0x960, v52
	v_pack_b32_f16 v49, v53, v64
	v_mov_b32_e32 v44, v48
	v_mad_co_u64_u32 v[33:34], null, s17, v54, v[21:22]
	v_mul_hi_u32 v34, 0x1b4e81b5, v25
	v_add_nc_u32_e32 v48, 0xbb8, v52
	v_add_co_u32 v21, vcc_lo, v3, v22
	s_wait_alu 0xfffd
	v_add_co_ci_u32_e32 v22, vcc_lo, v20, v23, vcc_lo
	v_mov_b32_e32 v47, v33
	v_mad_co_u64_u32 v[41:42], null, s16, v48, 0
	v_lshrrev_b32_e32 v50, 6, v34
	v_mad_co_u64_u32 v[33:34], null, s16, v45, 0
	v_lshlrev_b64_e32 v[39:40], 2, v[43:44]
	v_lshlrev_b64_e32 v[43:44], 2, v[46:47]
	s_delay_alu instid0(VALU_DEP_4)
	v_mul_u32_u24_e32 v23, 0x258, v50
	v_pack_b32_f16 v52, v65, v58
	global_store_b32 v[21:22], v49, off
	v_add_co_u32 v39, vcc_lo, v3, v39
	v_sub_nc_u32_e32 v51, v25, v23
	v_mov_b32_e32 v23, v34
	v_mov_b32_e32 v25, v42
	s_wait_alu 0xfffd
	v_add_co_ci_u32_e32 v40, vcc_lo, v20, v40, vcc_lo
	v_mad_u32_u24 v50, 0xe10, v50, v51
	v_mad_co_u64_u32 v[45:46], null, s17, v45, v[23:24]
	v_mad_co_u64_u32 v[46:47], null, s17, v48, v[25:26]
	s_delay_alu instid0(VALU_DEP_3)
	v_mad_co_u64_u32 v[47:48], null, s16, v50, 0
	v_add_co_u32 v43, vcc_lo, v3, v43
	s_wait_alu 0xfffd
	v_add_co_ci_u32_e32 v44, vcc_lo, v20, v44, vcc_lo
	v_pack_b32_f16 v23, v32, v31
	v_mov_b32_e32 v34, v45
	global_store_b32 v[39:40], v52, off
	v_mov_b32_e32 v21, v48
	v_add_nc_u32_e32 v25, 0x258, v50
	global_store_b32 v[43:44], v23, off
	v_lshlrev_b64_e32 v[22:23], 2, v[33:34]
	v_mov_b32_e32 v42, v46
	v_mad_co_u64_u32 v[39:40], null, s16, v25, 0
	s_delay_alu instid0(VALU_DEP_3) | instskip(SKIP_3) | instid1(VALU_DEP_4)
	v_mad_co_u64_u32 v[33:34], null, s17, v50, v[21:22]
	v_add_co_u32 v21, vcc_lo, v3, v22
	s_wait_alu 0xfffd
	v_add_co_ci_u32_e32 v22, vcc_lo, v20, v23, vcc_lo
	v_mov_b32_e32 v23, v40
	v_lshlrev_b64_e32 v[31:32], 2, v[41:42]
	v_mov_b32_e32 v48, v33
	v_add_nc_u32_e32 v42, 0x4b0, v50
	v_pack_b32_f16 v41, v36, v35
	v_mad_co_u64_u32 v[35:36], null, s17, v25, v[23:24]
	s_delay_alu instid0(VALU_DEP_4) | instskip(NEXT) | instid1(VALU_DEP_4)
	v_lshlrev_b64_e32 v[33:34], 2, v[47:48]
	v_mad_co_u64_u32 v[36:37], null, s16, v42, 0
	v_add_co_u32 v31, vcc_lo, v3, v31
	s_wait_alu 0xfffd
	v_add_co_ci_u32_e32 v32, vcc_lo, v20, v32, vcc_lo
	s_delay_alu instid0(VALU_DEP_4)
	v_add_co_u32 v33, vcc_lo, v3, v33
	s_wait_alu 0xfffd
	v_add_co_ci_u32_e32 v34, vcc_lo, v20, v34, vcc_lo
	v_pack_b32_f16 v23, v26, v19
	v_mov_b32_e32 v19, v37
	s_clause 0x1
	global_store_b32 v[21:22], v38, off
	global_store_b32 v[31:32], v41, off
	v_add_nc_u32_e32 v38, 0x1e0, v24
	global_store_b32 v[33:34], v23, off
	v_add_nc_u32_e32 v33, 0x708, v50
	v_mad_co_u64_u32 v[25:26], null, s17, v42, v[19:20]
	v_dual_mov_b32 v40, v35 :: v_dual_add_nc_u32 v35, 0x960, v50
	s_delay_alu instid0(VALU_DEP_3) | instskip(SKIP_1) | instid1(VALU_DEP_3)
	v_mad_co_u64_u32 v[31:32], null, s16, v33, 0
	v_mul_hi_u32 v34, 0x1b4e81b5, v38
	v_lshlrev_b64_e32 v[21:22], 2, v[39:40]
	v_mov_b32_e32 v37, v25
	v_mad_co_u64_u32 v[23:24], null, s16, v35, 0
	v_pack_b32_f16 v39, v30, v29
	v_mov_b32_e32 v19, v32
	s_delay_alu instid0(VALU_DEP_4) | instskip(SKIP_2) | instid1(VALU_DEP_4)
	v_lshlrev_b64_e32 v[25:26], 2, v[36:37]
	v_add_nc_u32_e32 v37, 0xbb8, v50
	v_add_co_u32 v21, vcc_lo, v3, v21
	v_mad_co_u64_u32 v[29:30], null, s17, v33, v[19:20]
	v_lshrrev_b32_e32 v30, 6, v34
	s_delay_alu instid0(VALU_DEP_4)
	v_mad_co_u64_u32 v[33:34], null, s16, v37, 0
	v_mov_b32_e32 v19, v24
	s_wait_alu 0xfffd
	v_add_co_ci_u32_e32 v22, vcc_lo, v20, v22, vcc_lo
	v_mul_u32_u24_e32 v24, 0x258, v30
	v_mov_b32_e32 v32, v29
	v_mad_co_u64_u32 v[35:36], null, s17, v35, v[19:20]
	v_mov_b32_e32 v19, v34
	s_delay_alu instid0(VALU_DEP_4) | instskip(SKIP_2) | instid1(VALU_DEP_4)
	v_sub_nc_u32_e32 v29, v38, v24
	v_add_co_u32 v25, vcc_lo, v3, v25
	v_pack_b32_f16 v36, v28, v27
	v_mad_co_u64_u32 v[27:28], null, s17, v37, v[19:20]
	s_wait_alu 0xfffd
	v_add_co_ci_u32_e32 v26, vcc_lo, v20, v26, vcc_lo
	v_mad_u32_u24 v28, 0xe10, v30, v29
	v_mov_b32_e32 v24, v35
	s_clause 0x1
	global_store_b32 v[21:22], v39, off
	global_store_b32 v[25:26], v36, off
	v_lshlrev_b64_e32 v[21:22], 2, v[31:32]
	v_mad_co_u64_u32 v[25:26], null, s16, v28, 0
	v_mov_b32_e32 v34, v27
	v_lshlrev_b64_e32 v[23:24], 2, v[23:24]
	v_pack_b32_f16 v29, v14, v13
	v_add_co_u32 v21, vcc_lo, v3, v21
	s_delay_alu instid0(VALU_DEP_4)
	v_lshlrev_b64_e32 v[13:14], 2, v[33:34]
	s_wait_alu 0xfffd
	v_add_co_ci_u32_e32 v22, vcc_lo, v20, v22, vcc_lo
	v_mov_b32_e32 v19, v26
	v_add_co_u32 v23, vcc_lo, v3, v23
	s_wait_alu 0xfffd
	v_add_co_ci_u32_e32 v24, vcc_lo, v20, v24, vcc_lo
	v_add_co_u32 v13, vcc_lo, v3, v13
	v_mad_co_u64_u32 v[26:27], null, s17, v28, v[19:20]
	s_wait_alu 0xfffd
	v_add_co_ci_u32_e32 v14, vcc_lo, v20, v14, vcc_lo
	v_add_nc_u32_e32 v19, 0x258, v28
	v_add_nc_u32_e32 v27, 0x4b0, v28
	s_clause 0x2
	global_store_b32 v[21:22], v29, off
	global_store_b32 v[23:24], v17, off
	;; [unrolled: 1-line block ×3, first 2 shown]
	v_lshlrev_b64_e32 v[13:14], 2, v[25:26]
	v_mad_co_u64_u32 v[15:16], null, s16, v19, 0
	v_mad_co_u64_u32 v[17:18], null, s16, v27, 0
	v_add_nc_u32_e32 v26, 0x708, v28
	s_delay_alu instid0(VALU_DEP_4) | instskip(SKIP_2) | instid1(VALU_DEP_3)
	v_add_co_u32 v13, vcc_lo, v3, v13
	s_wait_alu 0xfffd
	v_add_co_ci_u32_e32 v14, vcc_lo, v20, v14, vcc_lo
	v_mad_co_u64_u32 v[21:22], null, s16, v26, 0
	v_mad_co_u64_u32 v[23:24], null, s17, v19, v[16:17]
	v_add_nc_u32_e32 v29, 0x960, v28
	global_store_b32 v[13:14], v8, off
	v_add_nc_u32_e32 v8, 0xbb8, v28
	v_mad_co_u64_u32 v[18:19], null, s17, v27, v[18:19]
	v_mad_co_u64_u32 v[24:25], null, s16, v29, 0
	v_mov_b32_e32 v16, v23
	v_mov_b32_e32 v2, v22
	v_pack_b32_f16 v19, v12, v11
	v_lshlrev_b64_e32 v[11:12], 2, v[17:18]
	s_delay_alu instid0(VALU_DEP_4) | instskip(SKIP_3) | instid1(VALU_DEP_4)
	v_lshlrev_b64_e32 v[13:14], 2, v[15:16]
	v_mad_co_u64_u32 v[15:16], null, s16, v8, 0
	v_mad_co_u64_u32 v[22:23], null, s17, v26, v[2:3]
	v_mov_b32_e32 v2, v25
	v_add_co_u32 v13, vcc_lo, v3, v13
	s_wait_alu 0xfffd
	v_add_co_ci_u32_e32 v14, vcc_lo, v20, v14, vcc_lo
	s_delay_alu instid0(VALU_DEP_3)
	v_mad_co_u64_u32 v[25:26], null, s17, v29, v[2:3]
	v_mov_b32_e32 v2, v16
	v_lshlrev_b64_e32 v[17:18], 2, v[21:22]
	v_add_co_u32 v11, vcc_lo, v3, v11
	s_wait_alu 0xfffd
	v_add_co_ci_u32_e32 v12, vcc_lo, v20, v12, vcc_lo
	v_mad_co_u64_u32 v[21:22], null, s17, v8, v[2:3]
	v_pack_b32_f16 v2, v10, v9
	v_lshlrev_b64_e32 v[8:9], 2, v[24:25]
	v_add_co_u32 v17, vcc_lo, v3, v17
	v_pack_b32_f16 v10, v1, v0
	s_wait_alu 0xfffd
	v_add_co_ci_u32_e32 v18, vcc_lo, v20, v18, vcc_lo
	v_mov_b32_e32 v16, v21
	v_add_co_u32 v8, vcc_lo, v3, v8
	s_wait_alu 0xfffd
	v_add_co_ci_u32_e32 v9, vcc_lo, v20, v9, vcc_lo
	s_delay_alu instid0(VALU_DEP_3) | instskip(NEXT) | instid1(VALU_DEP_1)
	v_lshlrev_b64_e32 v[0:1], 2, v[15:16]
	v_add_co_u32 v0, vcc_lo, v3, v0
	s_wait_alu 0xfffd
	s_delay_alu instid0(VALU_DEP_2)
	v_add_co_ci_u32_e32 v1, vcc_lo, v20, v1, vcc_lo
	v_pack_b32_f16 v3, v5, v4
	s_clause 0x4
	global_store_b32 v[13:14], v19, off
	global_store_b32 v[11:12], v2, off
	global_store_b32 v[17:18], v10, off
	global_store_b32 v[8:9], v6, off
	global_store_b32 v[0:1], v3, off
.LBB0_15:
	s_nop 0
	s_sendmsg sendmsg(MSG_DEALLOC_VGPRS)
	s_endpgm
	.section	.rodata,"a",@progbits
	.p2align	6, 0x0
	.amdhsa_kernel fft_rtc_back_len3600_factors_10_10_6_6_wgs_120_tpt_120_halfLds_half_op_CI_CI_sbrr_dirReg
		.amdhsa_group_segment_fixed_size 0
		.amdhsa_private_segment_fixed_size 0
		.amdhsa_kernarg_size 104
		.amdhsa_user_sgpr_count 2
		.amdhsa_user_sgpr_dispatch_ptr 0
		.amdhsa_user_sgpr_queue_ptr 0
		.amdhsa_user_sgpr_kernarg_segment_ptr 1
		.amdhsa_user_sgpr_dispatch_id 0
		.amdhsa_user_sgpr_private_segment_size 0
		.amdhsa_wavefront_size32 1
		.amdhsa_uses_dynamic_stack 0
		.amdhsa_enable_private_segment 0
		.amdhsa_system_sgpr_workgroup_id_x 1
		.amdhsa_system_sgpr_workgroup_id_y 0
		.amdhsa_system_sgpr_workgroup_id_z 0
		.amdhsa_system_sgpr_workgroup_info 0
		.amdhsa_system_vgpr_workitem_id 0
		.amdhsa_next_free_vgpr 106
		.amdhsa_next_free_sgpr 43
		.amdhsa_reserve_vcc 1
		.amdhsa_float_round_mode_32 0
		.amdhsa_float_round_mode_16_64 0
		.amdhsa_float_denorm_mode_32 3
		.amdhsa_float_denorm_mode_16_64 3
		.amdhsa_fp16_overflow 0
		.amdhsa_workgroup_processor_mode 1
		.amdhsa_memory_ordered 1
		.amdhsa_forward_progress 0
		.amdhsa_round_robin_scheduling 0
		.amdhsa_exception_fp_ieee_invalid_op 0
		.amdhsa_exception_fp_denorm_src 0
		.amdhsa_exception_fp_ieee_div_zero 0
		.amdhsa_exception_fp_ieee_overflow 0
		.amdhsa_exception_fp_ieee_underflow 0
		.amdhsa_exception_fp_ieee_inexact 0
		.amdhsa_exception_int_div_zero 0
	.end_amdhsa_kernel
	.text
.Lfunc_end0:
	.size	fft_rtc_back_len3600_factors_10_10_6_6_wgs_120_tpt_120_halfLds_half_op_CI_CI_sbrr_dirReg, .Lfunc_end0-fft_rtc_back_len3600_factors_10_10_6_6_wgs_120_tpt_120_halfLds_half_op_CI_CI_sbrr_dirReg
                                        ; -- End function
	.section	.AMDGPU.csdata,"",@progbits
; Kernel info:
; codeLenInByte = 20756
; NumSgprs: 45
; NumVgprs: 106
; ScratchSize: 0
; MemoryBound: 0
; FloatMode: 240
; IeeeMode: 1
; LDSByteSize: 0 bytes/workgroup (compile time only)
; SGPRBlocks: 5
; VGPRBlocks: 13
; NumSGPRsForWavesPerEU: 45
; NumVGPRsForWavesPerEU: 106
; Occupancy: 12
; WaveLimiterHint : 1
; COMPUTE_PGM_RSRC2:SCRATCH_EN: 0
; COMPUTE_PGM_RSRC2:USER_SGPR: 2
; COMPUTE_PGM_RSRC2:TRAP_HANDLER: 0
; COMPUTE_PGM_RSRC2:TGID_X_EN: 1
; COMPUTE_PGM_RSRC2:TGID_Y_EN: 0
; COMPUTE_PGM_RSRC2:TGID_Z_EN: 0
; COMPUTE_PGM_RSRC2:TIDIG_COMP_CNT: 0
	.text
	.p2alignl 7, 3214868480
	.fill 96, 4, 3214868480
	.type	__hip_cuid_5ce8b21b9fed33e8,@object ; @__hip_cuid_5ce8b21b9fed33e8
	.section	.bss,"aw",@nobits
	.globl	__hip_cuid_5ce8b21b9fed33e8
__hip_cuid_5ce8b21b9fed33e8:
	.byte	0                               ; 0x0
	.size	__hip_cuid_5ce8b21b9fed33e8, 1

	.ident	"AMD clang version 19.0.0git (https://github.com/RadeonOpenCompute/llvm-project roc-6.4.0 25133 c7fe45cf4b819c5991fe208aaa96edf142730f1d)"
	.section	".note.GNU-stack","",@progbits
	.addrsig
	.addrsig_sym __hip_cuid_5ce8b21b9fed33e8
	.amdgpu_metadata
---
amdhsa.kernels:
  - .args:
      - .actual_access:  read_only
        .address_space:  global
        .offset:         0
        .size:           8
        .value_kind:     global_buffer
      - .offset:         8
        .size:           8
        .value_kind:     by_value
      - .actual_access:  read_only
        .address_space:  global
        .offset:         16
        .size:           8
        .value_kind:     global_buffer
      - .actual_access:  read_only
        .address_space:  global
        .offset:         24
        .size:           8
        .value_kind:     global_buffer
      - .actual_access:  read_only
        .address_space:  global
        .offset:         32
        .size:           8
        .value_kind:     global_buffer
      - .offset:         40
        .size:           8
        .value_kind:     by_value
      - .actual_access:  read_only
        .address_space:  global
        .offset:         48
        .size:           8
        .value_kind:     global_buffer
      - .actual_access:  read_only
        .address_space:  global
        .offset:         56
        .size:           8
        .value_kind:     global_buffer
      - .offset:         64
        .size:           4
        .value_kind:     by_value
      - .actual_access:  read_only
        .address_space:  global
        .offset:         72
        .size:           8
        .value_kind:     global_buffer
      - .actual_access:  read_only
        .address_space:  global
        .offset:         80
        .size:           8
        .value_kind:     global_buffer
      - .actual_access:  read_only
        .address_space:  global
        .offset:         88
        .size:           8
        .value_kind:     global_buffer
      - .actual_access:  write_only
        .address_space:  global
        .offset:         96
        .size:           8
        .value_kind:     global_buffer
    .group_segment_fixed_size: 0
    .kernarg_segment_align: 8
    .kernarg_segment_size: 104
    .language:       OpenCL C
    .language_version:
      - 2
      - 0
    .max_flat_workgroup_size: 120
    .name:           fft_rtc_back_len3600_factors_10_10_6_6_wgs_120_tpt_120_halfLds_half_op_CI_CI_sbrr_dirReg
    .private_segment_fixed_size: 0
    .sgpr_count:     45
    .sgpr_spill_count: 0
    .symbol:         fft_rtc_back_len3600_factors_10_10_6_6_wgs_120_tpt_120_halfLds_half_op_CI_CI_sbrr_dirReg.kd
    .uniform_work_group_size: 1
    .uses_dynamic_stack: false
    .vgpr_count:     106
    .vgpr_spill_count: 0
    .wavefront_size: 32
    .workgroup_processor_mode: 1
amdhsa.target:   amdgcn-amd-amdhsa--gfx1201
amdhsa.version:
  - 1
  - 2
...

	.end_amdgpu_metadata
